;; amdgpu-corpus repo=ROCm/rocFFT kind=compiled arch=gfx1030 opt=O3
	.text
	.amdgcn_target "amdgcn-amd-amdhsa--gfx1030"
	.amdhsa_code_object_version 6
	.protected	fft_rtc_fwd_len918_factors_17_9_2_3_wgs_102_tpt_102_halfLds_sp_op_CI_CI_sbrr_dirReg ; -- Begin function fft_rtc_fwd_len918_factors_17_9_2_3_wgs_102_tpt_102_halfLds_sp_op_CI_CI_sbrr_dirReg
	.globl	fft_rtc_fwd_len918_factors_17_9_2_3_wgs_102_tpt_102_halfLds_sp_op_CI_CI_sbrr_dirReg
	.p2align	8
	.type	fft_rtc_fwd_len918_factors_17_9_2_3_wgs_102_tpt_102_halfLds_sp_op_CI_CI_sbrr_dirReg,@function
fft_rtc_fwd_len918_factors_17_9_2_3_wgs_102_tpt_102_halfLds_sp_op_CI_CI_sbrr_dirReg: ; @fft_rtc_fwd_len918_factors_17_9_2_3_wgs_102_tpt_102_halfLds_sp_op_CI_CI_sbrr_dirReg
; %bb.0:
	s_clause 0x2
	s_load_dwordx4 s[16:19], s[4:5], 0x18
	s_load_dwordx4 s[12:15], s[4:5], 0x0
	;; [unrolled: 1-line block ×3, first 2 shown]
	v_mul_u32_u24_e32 v1, 0x283, v0
	v_mov_b32_e32 v3, 0
	v_mov_b32_e32 v41, 0
	;; [unrolled: 1-line block ×3, first 2 shown]
	s_waitcnt lgkmcnt(0)
	s_load_dwordx2 s[20:21], s[16:17], 0x0
	s_load_dwordx2 s[2:3], s[18:19], 0x0
	v_cmp_lt_u64_e64 s0, s[14:15], 2
	v_add_nc_u32_sdwa v7, s6, v1 dst_sel:DWORD dst_unused:UNUSED_PAD src0_sel:DWORD src1_sel:WORD_1
	v_mov_b32_e32 v8, v3
	s_and_b32 vcc_lo, exec_lo, s0
	s_cbranch_vccnz .LBB0_8
; %bb.1:
	s_load_dwordx2 s[0:1], s[4:5], 0x10
	v_mov_b32_e32 v41, 0
	v_mov_b32_e32 v42, 0
	s_add_u32 s6, s18, 8
	s_addc_u32 s7, s19, 0
	v_mov_b32_e32 v1, v41
	s_add_u32 s22, s16, 8
	v_mov_b32_e32 v2, v42
	s_addc_u32 s23, s17, 0
	s_mov_b64 s[26:27], 1
	s_waitcnt lgkmcnt(0)
	s_add_u32 s24, s0, 8
	s_addc_u32 s25, s1, 0
.LBB0_2:                                ; =>This Inner Loop Header: Depth=1
	s_load_dwordx2 s[28:29], s[24:25], 0x0
                                        ; implicit-def: $vgpr5_vgpr6
	s_mov_b32 s0, exec_lo
	s_waitcnt lgkmcnt(0)
	v_or_b32_e32 v4, s29, v8
	v_cmpx_ne_u64_e32 0, v[3:4]
	s_xor_b32 s1, exec_lo, s0
	s_cbranch_execz .LBB0_4
; %bb.3:                                ;   in Loop: Header=BB0_2 Depth=1
	v_cvt_f32_u32_e32 v4, s28
	v_cvt_f32_u32_e32 v5, s29
	s_sub_u32 s0, 0, s28
	s_subb_u32 s30, 0, s29
	v_fmac_f32_e32 v4, 0x4f800000, v5
	v_rcp_f32_e32 v4, v4
	v_mul_f32_e32 v4, 0x5f7ffffc, v4
	v_mul_f32_e32 v5, 0x2f800000, v4
	v_trunc_f32_e32 v5, v5
	v_fmac_f32_e32 v4, 0xcf800000, v5
	v_cvt_u32_f32_e32 v5, v5
	v_cvt_u32_f32_e32 v4, v4
	v_mul_lo_u32 v6, s0, v5
	v_mul_hi_u32 v9, s0, v4
	v_mul_lo_u32 v10, s30, v4
	v_add_nc_u32_e32 v6, v9, v6
	v_mul_lo_u32 v9, s0, v4
	v_add_nc_u32_e32 v6, v6, v10
	v_mul_hi_u32 v10, v4, v9
	v_mul_lo_u32 v11, v4, v6
	v_mul_hi_u32 v12, v4, v6
	v_mul_hi_u32 v13, v5, v9
	v_mul_lo_u32 v9, v5, v9
	v_mul_hi_u32 v14, v5, v6
	v_mul_lo_u32 v6, v5, v6
	v_add_co_u32 v10, vcc_lo, v10, v11
	v_add_co_ci_u32_e32 v11, vcc_lo, 0, v12, vcc_lo
	v_add_co_u32 v9, vcc_lo, v10, v9
	v_add_co_ci_u32_e32 v9, vcc_lo, v11, v13, vcc_lo
	v_add_co_ci_u32_e32 v10, vcc_lo, 0, v14, vcc_lo
	v_add_co_u32 v6, vcc_lo, v9, v6
	v_add_co_ci_u32_e32 v9, vcc_lo, 0, v10, vcc_lo
	v_add_co_u32 v4, vcc_lo, v4, v6
	v_add_co_ci_u32_e32 v5, vcc_lo, v5, v9, vcc_lo
	v_mul_hi_u32 v6, s0, v4
	v_mul_lo_u32 v10, s30, v4
	v_mul_lo_u32 v9, s0, v5
	v_add_nc_u32_e32 v6, v6, v9
	v_mul_lo_u32 v9, s0, v4
	v_add_nc_u32_e32 v6, v6, v10
	v_mul_hi_u32 v10, v4, v9
	v_mul_lo_u32 v11, v4, v6
	v_mul_hi_u32 v12, v4, v6
	v_mul_hi_u32 v13, v5, v9
	v_mul_lo_u32 v9, v5, v9
	v_mul_hi_u32 v14, v5, v6
	v_mul_lo_u32 v6, v5, v6
	v_add_co_u32 v10, vcc_lo, v10, v11
	v_add_co_ci_u32_e32 v11, vcc_lo, 0, v12, vcc_lo
	v_add_co_u32 v9, vcc_lo, v10, v9
	v_add_co_ci_u32_e32 v9, vcc_lo, v11, v13, vcc_lo
	v_add_co_ci_u32_e32 v10, vcc_lo, 0, v14, vcc_lo
	v_add_co_u32 v6, vcc_lo, v9, v6
	v_add_co_ci_u32_e32 v9, vcc_lo, 0, v10, vcc_lo
	v_add_co_u32 v6, vcc_lo, v4, v6
	v_add_co_ci_u32_e32 v11, vcc_lo, v5, v9, vcc_lo
	v_mul_hi_u32 v13, v7, v6
	v_mad_u64_u32 v[9:10], null, v8, v6, 0
	v_mad_u64_u32 v[4:5], null, v7, v11, 0
	v_mad_u64_u32 v[11:12], null, v8, v11, 0
	v_add_co_u32 v4, vcc_lo, v13, v4
	v_add_co_ci_u32_e32 v5, vcc_lo, 0, v5, vcc_lo
	v_add_co_u32 v4, vcc_lo, v4, v9
	v_add_co_ci_u32_e32 v4, vcc_lo, v5, v10, vcc_lo
	v_add_co_ci_u32_e32 v5, vcc_lo, 0, v12, vcc_lo
	v_add_co_u32 v9, vcc_lo, v4, v11
	v_add_co_ci_u32_e32 v6, vcc_lo, 0, v5, vcc_lo
	v_mul_lo_u32 v10, s29, v9
	v_mad_u64_u32 v[4:5], null, s28, v9, 0
	v_mul_lo_u32 v11, s28, v6
	v_sub_co_u32 v4, vcc_lo, v7, v4
	v_add3_u32 v5, v5, v11, v10
	v_sub_nc_u32_e32 v10, v8, v5
	v_subrev_co_ci_u32_e64 v10, s0, s29, v10, vcc_lo
	v_add_co_u32 v11, s0, v9, 2
	v_add_co_ci_u32_e64 v12, s0, 0, v6, s0
	v_sub_co_u32 v13, s0, v4, s28
	v_sub_co_ci_u32_e32 v5, vcc_lo, v8, v5, vcc_lo
	v_subrev_co_ci_u32_e64 v10, s0, 0, v10, s0
	v_cmp_le_u32_e32 vcc_lo, s28, v13
	v_cmp_eq_u32_e64 s0, s29, v5
	v_cndmask_b32_e64 v13, 0, -1, vcc_lo
	v_cmp_le_u32_e32 vcc_lo, s29, v10
	v_cndmask_b32_e64 v14, 0, -1, vcc_lo
	v_cmp_le_u32_e32 vcc_lo, s28, v4
	;; [unrolled: 2-line block ×3, first 2 shown]
	v_cndmask_b32_e64 v15, 0, -1, vcc_lo
	v_cmp_eq_u32_e32 vcc_lo, s29, v10
	v_cndmask_b32_e64 v4, v15, v4, s0
	v_cndmask_b32_e32 v10, v14, v13, vcc_lo
	v_add_co_u32 v13, vcc_lo, v9, 1
	v_add_co_ci_u32_e32 v14, vcc_lo, 0, v6, vcc_lo
	v_cmp_ne_u32_e32 vcc_lo, 0, v10
	v_cndmask_b32_e32 v5, v14, v12, vcc_lo
	v_cndmask_b32_e32 v10, v13, v11, vcc_lo
	v_cmp_ne_u32_e32 vcc_lo, 0, v4
	v_cndmask_b32_e32 v6, v6, v5, vcc_lo
	v_cndmask_b32_e32 v5, v9, v10, vcc_lo
.LBB0_4:                                ;   in Loop: Header=BB0_2 Depth=1
	s_andn2_saveexec_b32 s0, s1
	s_cbranch_execz .LBB0_6
; %bb.5:                                ;   in Loop: Header=BB0_2 Depth=1
	v_cvt_f32_u32_e32 v4, s28
	s_sub_i32 s1, 0, s28
	v_rcp_iflag_f32_e32 v4, v4
	v_mul_f32_e32 v4, 0x4f7ffffe, v4
	v_cvt_u32_f32_e32 v4, v4
	v_mul_lo_u32 v5, s1, v4
	v_mul_hi_u32 v5, v4, v5
	v_add_nc_u32_e32 v4, v4, v5
	v_mul_hi_u32 v4, v7, v4
	v_mul_lo_u32 v5, v4, s28
	v_add_nc_u32_e32 v6, 1, v4
	v_sub_nc_u32_e32 v5, v7, v5
	v_subrev_nc_u32_e32 v9, s28, v5
	v_cmp_le_u32_e32 vcc_lo, s28, v5
	v_cndmask_b32_e32 v5, v5, v9, vcc_lo
	v_cndmask_b32_e32 v4, v4, v6, vcc_lo
	v_cmp_le_u32_e32 vcc_lo, s28, v5
	v_add_nc_u32_e32 v6, 1, v4
	v_cndmask_b32_e32 v5, v4, v6, vcc_lo
	v_mov_b32_e32 v6, v3
.LBB0_6:                                ;   in Loop: Header=BB0_2 Depth=1
	s_or_b32 exec_lo, exec_lo, s0
	v_mul_lo_u32 v4, v6, s28
	v_mul_lo_u32 v11, v5, s29
	s_load_dwordx2 s[0:1], s[22:23], 0x0
	v_mad_u64_u32 v[9:10], null, v5, s28, 0
	s_load_dwordx2 s[28:29], s[6:7], 0x0
	s_add_u32 s26, s26, 1
	s_addc_u32 s27, s27, 0
	s_add_u32 s6, s6, 8
	s_addc_u32 s7, s7, 0
	s_add_u32 s22, s22, 8
	v_add3_u32 v4, v10, v11, v4
	v_sub_co_u32 v7, vcc_lo, v7, v9
	s_addc_u32 s23, s23, 0
	s_add_u32 s24, s24, 8
	v_sub_co_ci_u32_e32 v4, vcc_lo, v8, v4, vcc_lo
	s_addc_u32 s25, s25, 0
	s_waitcnt lgkmcnt(0)
	v_mul_lo_u32 v8, s0, v4
	v_mul_lo_u32 v9, s1, v7
	v_mad_u64_u32 v[41:42], null, s0, v7, v[41:42]
	v_mul_lo_u32 v4, s28, v4
	v_mul_lo_u32 v10, s29, v7
	v_mad_u64_u32 v[1:2], null, s28, v7, v[1:2]
	v_cmp_ge_u64_e64 s0, s[26:27], s[14:15]
	v_add3_u32 v42, v9, v42, v8
	v_add3_u32 v2, v10, v2, v4
	s_and_b32 vcc_lo, exec_lo, s0
	s_cbranch_vccnz .LBB0_9
; %bb.7:                                ;   in Loop: Header=BB0_2 Depth=1
	v_mov_b32_e32 v8, v6
	v_mov_b32_e32 v7, v5
	s_branch .LBB0_2
.LBB0_8:
	v_mov_b32_e32 v1, v41
	v_mov_b32_e32 v5, v7
	;; [unrolled: 1-line block ×4, first 2 shown]
.LBB0_9:
	s_load_dwordx2 s[0:1], s[4:5], 0x28
	v_mul_hi_u32 v3, 0x2828283, v0
	s_lshl_b64 s[6:7], s[14:15], 3
	v_mov_b32_e32 v8, 0
	v_mov_b32_e32 v7, 0
	s_add_u32 s4, s18, s6
	s_addc_u32 s5, s19, s7
                                        ; implicit-def: $vgpr14
                                        ; implicit-def: $vgpr12
                                        ; implicit-def: $vgpr10
                                        ; implicit-def: $vgpr22
                                        ; implicit-def: $vgpr20
                                        ; implicit-def: $vgpr18
                                        ; implicit-def: $vgpr16
                                        ; implicit-def: $vgpr26
                                        ; implicit-def: $vgpr24
                                        ; implicit-def: $vgpr30
                                        ; implicit-def: $vgpr34
                                        ; implicit-def: $vgpr38
                                        ; implicit-def: $vgpr40
                                        ; implicit-def: $vgpr28
                                        ; implicit-def: $vgpr32
                                        ; implicit-def: $vgpr36
	v_mul_u32_u24_e32 v3, 0x66, v3
	v_sub_nc_u32_e32 v3, v0, v3
	s_waitcnt lgkmcnt(0)
	v_cmp_gt_u64_e32 vcc_lo, s[0:1], v[5:6]
	v_cmp_gt_u32_e64 s0, 54, v3
	s_and_b32 s1, vcc_lo, s0
	s_and_saveexec_b32 s14, s1
	s_cbranch_execz .LBB0_11
; %bb.10:
	s_add_u32 s6, s16, s6
	s_addc_u32 s7, s17, s7
	v_add_nc_u32_e32 v21, 54, v3
	s_load_dwordx2 s[6:7], s[6:7], 0x0
	v_mad_u64_u32 v[7:8], null, s20, v3, 0
	v_add_nc_u32_e32 v22, 0x6c, v3
	v_mad_u64_u32 v[11:12], null, s20, v21, 0
	v_add_nc_u32_e32 v23, 0xa2, v3
	v_add_nc_u32_e32 v24, 0xd8, v3
	v_mad_u64_u32 v[13:14], null, s20, v22, 0
	v_mov_b32_e32 v0, v8
	v_mad_u64_u32 v[15:16], null, s20, v23, 0
	v_mov_b32_e32 v4, v12
	v_lshlrev_b64 v[9:10], 3, v[41:42]
	v_mad_u64_u32 v[19:20], null, s21, v3, v[0:1]
	v_mov_b32_e32 v0, v14
	v_mad_u64_u32 v[20:21], null, s21, v21, v[4:5]
	s_waitcnt lgkmcnt(0)
	v_mul_lo_u32 v8, s7, v5
	v_mul_lo_u32 v25, s6, v6
	v_mad_u64_u32 v[17:18], null, s6, v5, 0
	v_mad_u64_u32 v[21:22], null, s21, v22, v[0:1]
	v_mov_b32_e32 v12, v16
	v_add_nc_u32_e32 v26, 0x17a, v3
	v_add_nc_u32_e32 v27, 0x1b0, v3
	;; [unrolled: 1-line block ×3, first 2 shown]
	v_add3_u32 v18, v18, v25, v8
	v_add_nc_u32_e32 v25, 0x10e, v3
	v_mov_b32_e32 v8, v19
	v_mov_b32_e32 v14, v21
	v_add_nc_u32_e32 v35, 0x2f4, v3
	v_lshlrev_b64 v[16:17], 3, v[17:18]
	v_mad_u64_u32 v[18:19], null, s21, v23, v[12:13]
	v_mov_b32_e32 v12, v20
	v_mad_u64_u32 v[19:20], null, s20, v24, 0
	v_mad_u64_u32 v[21:22], null, s20, v25, 0
	v_add_co_u32 v0, s1, s8, v16
	v_add_co_ci_u32_e64 v4, s1, s9, v17, s1
	v_mov_b32_e32 v16, v18
	v_add_co_u32 v47, s1, v0, v9
	v_mov_b32_e32 v0, v20
	v_add_co_ci_u32_e64 v48, s1, v4, v10, s1
	v_mov_b32_e32 v4, v22
	v_lshlrev_b64 v[9:10], 3, v[13:14]
	v_lshlrev_b64 v[13:14], 3, v[15:16]
	v_mad_u64_u32 v[15:16], null, s21, v24, v[0:1]
	v_mad_u64_u32 v[16:17], null, s21, v25, v[4:5]
	v_lshlrev_b64 v[7:8], 3, v[7:8]
	v_add_nc_u32_e32 v25, 0x144, v3
	v_lshlrev_b64 v[11:12], 3, v[11:12]
	v_mad_u64_u32 v[23:24], null, s20, v26, 0
	v_mov_b32_e32 v20, v15
	v_add_co_u32 v7, s1, v47, v7
	v_mov_b32_e32 v22, v16
	v_mad_u64_u32 v[15:16], null, s20, v25, 0
	v_add_co_ci_u32_e64 v8, s1, v48, v8, s1
	v_add_co_u32 v11, s1, v47, v11
	v_add_co_ci_u32_e64 v12, s1, v48, v12, s1
	v_add_co_u32 v9, s1, v47, v9
	v_add_co_ci_u32_e64 v10, s1, v48, v10, s1
	v_mov_b32_e32 v0, v16
	v_mov_b32_e32 v4, v24
	v_add_co_u32 v17, s1, v47, v13
	v_add_co_ci_u32_e64 v18, s1, v48, v14, s1
	s_clause 0x3
	global_load_dwordx2 v[7:8], v[7:8], off
	global_load_dwordx2 v[13:14], v[11:12], off
	;; [unrolled: 1-line block ×4, first 2 shown]
	v_lshlrev_b64 v[17:18], 3, v[19:20]
	v_lshlrev_b64 v[19:20], 3, v[21:22]
	v_mad_u64_u32 v[21:22], null, s21, v25, v[0:1]
	v_mad_u64_u32 v[24:25], null, s21, v26, v[4:5]
	;; [unrolled: 1-line block ×3, first 2 shown]
	v_add_nc_u32_e32 v4, 0x1e6, v3
	v_add_co_u32 v17, s1, v47, v17
	v_mov_b32_e32 v16, v21
	v_lshlrev_b64 v[21:22], 3, v[23:24]
	v_add_co_ci_u32_e64 v18, s1, v48, v18, s1
	v_mov_b32_e32 v0, v26
	v_lshlrev_b64 v[15:16], 3, v[15:16]
	v_add_co_u32 v19, s1, v47, v19
	v_add_co_ci_u32_e64 v20, s1, v48, v20, s1
	v_mad_u64_u32 v[23:24], null, s21, v27, v[0:1]
	v_mad_u64_u32 v[27:28], null, s20, v4, 0
	v_add_co_u32 v15, s1, v47, v15
	v_add_co_ci_u32_e64 v16, s1, v48, v16, s1
	v_mov_b32_e32 v26, v23
	v_mad_u64_u32 v[23:24], null, s20, v33, 0
	v_mov_b32_e32 v0, v28
	v_add_co_u32 v29, s1, v47, v21
	v_add_co_ci_u32_e64 v30, s1, v48, v22, s1
	v_mad_u64_u32 v[31:32], null, s21, v4, v[0:1]
	v_add_nc_u32_e32 v4, 0x252, v3
	s_clause 0x3
	global_load_dwordx2 v[21:22], v[17:18], off
	global_load_dwordx2 v[19:20], v[19:20], off
	;; [unrolled: 1-line block ×4, first 2 shown]
	v_mov_b32_e32 v0, v24
	v_mad_u64_u32 v[39:40], null, s20, v35, 0
	v_mad_u64_u32 v[29:30], null, s20, v4, 0
	v_mov_b32_e32 v28, v31
	v_mad_u64_u32 v[31:32], null, s21, v33, v[0:1]
	v_add_nc_u32_e32 v32, 0x288, v3
	v_lshlrev_b64 v[25:26], 3, v[25:26]
	v_add_nc_u32_e32 v49, 0x32a, v3
	v_mov_b32_e32 v0, v30
	v_lshlrev_b64 v[27:28], 3, v[27:28]
	v_mad_u64_u32 v[33:34], null, s20, v32, 0
	v_mov_b32_e32 v24, v31
	v_mad_u64_u32 v[30:31], null, s21, v4, v[0:1]
	v_add_nc_u32_e32 v4, 0x2be, v3
	v_add_co_u32 v25, s1, v47, v25
	v_mov_b32_e32 v0, v34
	v_lshlrev_b64 v[23:24], 3, v[23:24]
	v_mad_u64_u32 v[37:38], null, s20, v4, 0
	v_add_co_ci_u32_e64 v26, s1, v48, v26, s1
	v_mad_u64_u32 v[31:32], null, s21, v32, v[0:1]
	v_add_co_u32 v27, s1, v47, v27
	v_mov_b32_e32 v0, v38
	v_lshlrev_b64 v[29:30], 3, v[29:30]
	v_add_co_ci_u32_e64 v28, s1, v48, v28, s1
	v_add_co_u32 v23, s1, v47, v23
	v_mad_u64_u32 v[41:42], null, s21, v4, v[0:1]
	v_mov_b32_e32 v0, v40
	v_add_nc_u32_e32 v4, 0x360, v3
	v_mad_u64_u32 v[42:43], null, s20, v49, 0
	v_add_co_ci_u32_e64 v24, s1, v48, v24, s1
	v_mad_u64_u32 v[44:45], null, s21, v35, v[0:1]
	v_mad_u64_u32 v[45:46], null, s20, v4, 0
	v_mov_b32_e32 v0, v43
	v_add_co_u32 v29, s1, v47, v29
	v_add_co_ci_u32_e64 v30, s1, v48, v30, s1
	v_mov_b32_e32 v34, v31
	s_clause 0x3
	global_load_dwordx2 v[25:26], v[25:26], off
	global_load_dwordx2 v[35:36], v[27:28], off
	;; [unrolled: 1-line block ×4, first 2 shown]
	v_mov_b32_e32 v38, v41
	v_mad_u64_u32 v[29:30], null, s21, v49, v[0:1]
	v_mov_b32_e32 v0, v46
	v_lshlrev_b64 v[23:24], 3, v[33:34]
	v_lshlrev_b64 v[33:34], 3, v[37:38]
	v_mov_b32_e32 v40, v44
	v_mad_u64_u32 v[37:38], null, s21, v4, v[0:1]
	v_add_co_u32 v23, s1, v47, v23
	v_mov_b32_e32 v43, v29
	v_add_co_ci_u32_e64 v24, s1, v48, v24, s1
	v_lshlrev_b64 v[38:39], 3, v[39:40]
	v_add_co_u32 v29, s1, v47, v33
	v_mov_b32_e32 v46, v37
	v_add_co_ci_u32_e64 v30, s1, v48, v34, s1
	v_lshlrev_b64 v[33:34], 3, v[42:43]
	v_add_co_u32 v41, s1, v47, v38
	v_lshlrev_b64 v[37:38], 3, v[45:46]
	v_add_co_ci_u32_e64 v42, s1, v48, v39, s1
	v_add_co_u32 v43, s1, v47, v33
	v_add_co_ci_u32_e64 v44, s1, v48, v34, s1
	v_add_co_u32 v45, s1, v47, v37
	v_add_co_ci_u32_e64 v46, s1, v48, v38, s1
	s_clause 0x4
	global_load_dwordx2 v[39:40], v[23:24], off
	global_load_dwordx2 v[37:38], v[29:30], off
	;; [unrolled: 1-line block ×5, first 2 shown]
.LBB0_11:
	s_or_b32 exec_lo, exec_lo, s14
	s_waitcnt vmcnt(0)
	v_add_f32_e32 v44, v13, v23
	v_sub_f32_e32 v47, v14, v24
	v_add_f32_e32 v4, v11, v29
	v_sub_f32_e32 v48, v12, v30
	v_add_f32_e32 v41, v9, v33
	v_mul_f32_e32 v63, 0xbf7ba420, v44
	v_sub_f32_e32 v49, v10, v34
	v_mul_f32_e32 v56, 0x3f6eb680, v4
	v_add_f32_e32 v42, v21, v37
	v_mul_f32_e32 v57, 0xbf59a7d5, v41
	v_fmamk_f32 v0, v47, 0xbe3c28d5, v63
	v_sub_f32_e32 v50, v22, v38
	v_fmamk_f32 v43, v48, 0x3eb8f4ab, v56
	v_add_f32_e32 v45, v19, v39
	v_mul_f32_e32 v58, 0x3f3d2fb0, v42
	v_add_f32_e32 v0, v7, v0
	v_fmamk_f32 v46, v49, 0xbf06c442, v57
	v_sub_f32_e32 v51, v20, v40
	v_mul_f32_e32 v61, 0xbf1a4643, v45
	v_fmamk_f32 v52, v50, 0x3f2c7751, v58
	v_add_f32_e32 v0, v0, v43
	v_add_f32_e32 v43, v17, v27
	v_sub_f32_e32 v53, v18, v28
	v_fmamk_f32 v55, v51, 0xbf4c4adb, v61
	v_sub_f32_e32 v54, v16, v32
	v_add_f32_e32 v0, v0, v46
	v_add_f32_e32 v46, v15, v31
	v_mul_f32_e32 v59, 0x3ee437d1, v43
	v_add_f32_e32 v0, v0, v52
	v_mul_f32_e32 v62, 0xbe8c1d8e, v46
	v_fmamk_f32 v60, v53, 0x3f65296c, v59
	v_add_f32_e32 v52, v25, v35
	v_add_f32_e32 v0, v0, v55
	v_sub_f32_e32 v55, v26, v36
	v_fmamk_f32 v64, v54, 0xbf763a35, v62
	v_add_f32_e32 v0, v0, v60
	v_mul_f32_e32 v60, 0x3dbcf732, v52
	v_add_f32_e32 v0, v0, v64
	v_fmamk_f32 v64, v55, 0x3f7ee86f, v60
	v_add_f32_e32 v0, v0, v64
	s_and_saveexec_b32 s1, s0
	s_cbranch_execz .LBB0_13
; %bb.12:
	v_mul_f32_e32 v64, 0xbe3c28d5, v47
	v_mul_f32_e32 v65, 0x3eb8f4ab, v48
	;; [unrolled: 1-line block ×5, first 2 shown]
	v_sub_f32_e32 v63, v63, v64
	v_sub_f32_e32 v56, v56, v65
	v_mul_f32_e32 v71, 0x3f65296c, v48
	v_sub_f32_e32 v57, v57, v66
	v_fmamk_f32 v66, v44, 0xbf59a7d5, v70
	v_add_f32_e32 v63, v7, v63
	v_mul_f32_e32 v68, 0xbf4c4adb, v51
	v_sub_f32_e32 v58, v58, v67
	v_fmamk_f32 v67, v4, 0x3ee437d1, v71
	v_add_f32_e32 v66, v7, v66
	v_add_f32_e32 v56, v63, v56
	v_mul_f32_e32 v63, 0xbf7ee86f, v49
	v_mul_f32_e32 v64, 0x3f65296c, v53
	v_sub_f32_e32 v61, v61, v68
	v_add_f32_e32 v66, v66, v67
	v_add_f32_e32 v56, v56, v57
	v_mul_f32_e32 v57, 0x3f4c4adb, v50
	v_fmamk_f32 v68, v41, 0x3dbcf732, v63
	v_mul_f32_e32 v69, 0xbf763a35, v54
	v_sub_f32_e32 v59, v59, v64
	v_add_f32_e32 v56, v56, v58
	v_mul_f32_e32 v58, 0xbeb8f4ab, v51
	v_fmamk_f32 v64, v42, 0xbf1a4643, v57
	v_add_f32_e32 v66, v66, v68
	v_fma_f32 v67, 0xbf59a7d5, v44, -v70
	v_add_f32_e32 v56, v56, v61
	v_sub_f32_e32 v61, v62, v69
	v_fmamk_f32 v62, v45, 0x3f6eb680, v58
	v_add_f32_e32 v64, v66, v64
	v_mul_f32_e32 v65, 0x3f7ee86f, v55
	v_add_f32_e32 v56, v56, v59
	v_mul_f32_e32 v59, 0xbe3c28d5, v53
	v_fma_f32 v66, 0x3ee437d1, v4, -v71
	v_add_f32_e32 v67, v7, v67
	v_add_f32_e32 v62, v64, v62
	;; [unrolled: 1-line block ×3, first 2 shown]
	v_fmamk_f32 v61, v43, 0xbf7ba420, v59
	v_mul_f32_e32 v64, 0x3f2c7751, v54
	v_add_f32_e32 v66, v67, v66
	v_fma_f32 v63, 0x3dbcf732, v41, -v63
	v_sub_f32_e32 v60, v60, v65
	v_add_f32_e32 v61, v62, v61
	v_fmamk_f32 v62, v46, 0x3f3d2fb0, v64
	v_mul_f32_e32 v65, 0xbf4c4adb, v47
	v_add_f32_e32 v63, v66, v63
	v_fma_f32 v57, 0xbf1a4643, v42, -v57
	v_add_f32_e32 v56, v56, v60
	v_add_f32_e32 v60, v61, v62
	v_fmamk_f32 v61, v44, 0xbf1a4643, v65
	v_mul_f32_e32 v62, 0x3f763a35, v48
	v_add_f32_e32 v57, v63, v57
	v_fma_f32 v58, 0x3f6eb680, v45, -v58
	v_mul_f32_e32 v63, 0xbf763a35, v55
	v_add_f32_e32 v61, v7, v61
	v_fmamk_f32 v66, v4, 0xbe8c1d8e, v62
	v_mul_f32_e32 v67, 0xbeb8f4ab, v49
	v_add_f32_e32 v57, v57, v58
	v_fma_f32 v58, 0xbf7ba420, v43, -v59
	v_fmamk_f32 v59, v52, 0xbe8c1d8e, v63
	v_add_f32_e32 v61, v61, v66
	v_fmamk_f32 v66, v41, 0x3f6eb680, v67
	v_mul_f32_e32 v68, 0xbf06c442, v50
	v_add_f32_e32 v57, v57, v58
	v_fma_f32 v58, 0x3f3d2fb0, v46, -v64
	v_add_f32_e32 v59, v60, v59
	v_add_f32_e32 v60, v61, v66
	v_fmamk_f32 v61, v42, 0xbf59a7d5, v68
	v_mul_f32_e32 v64, 0x3f7ee86f, v51
	v_add_f32_e32 v57, v57, v58
	v_fma_f32 v58, 0xbe8c1d8e, v52, -v63
	v_fma_f32 v63, 0xbf1a4643, v44, -v65
	v_add_f32_e32 v60, v60, v61
	v_fmamk_f32 v61, v45, 0x3dbcf732, v64
	v_mul_f32_e32 v65, 0xbf2c7751, v53
	v_add_f32_e32 v57, v57, v58
	v_add_f32_e32 v58, v7, v63
	v_fma_f32 v62, 0xbe8c1d8e, v4, -v62
	v_add_f32_e32 v60, v60, v61
	v_fmamk_f32 v61, v43, 0x3f3d2fb0, v65
	v_mul_f32_e32 v63, 0xbf763a35, v47
	v_mul_f32_e32 v70, 0x3f2c7751, v49
	v_add_f32_e32 v58, v58, v62
	v_fma_f32 v62, 0x3f6eb680, v41, -v67
	v_add_f32_e32 v60, v60, v61
	v_fmamk_f32 v61, v44, 0xbe8c1d8e, v63
	v_mul_f32_e32 v67, 0x3f06c442, v48
	v_mul_f32_e32 v66, 0xbe3c28d5, v54
	v_add_f32_e32 v58, v58, v62
	v_fma_f32 v62, 0xbf59a7d5, v42, -v68
	v_add_f32_e32 v61, v7, v61
	v_fmamk_f32 v68, v4, 0xbf59a7d5, v67
	v_fma_f32 v63, 0xbe8c1d8e, v44, -v63
	v_fmamk_f32 v69, v46, 0xbf7ba420, v66
	v_add_f32_e32 v58, v58, v62
	v_fma_f32 v62, 0x3dbcf732, v45, -v64
	v_add_f32_e32 v61, v61, v68
	v_fmamk_f32 v64, v41, 0x3f3d2fb0, v70
	v_mul_f32_e32 v68, 0xbf65296c, v50
	v_add_f32_e32 v63, v7, v63
	v_add_f32_e32 v58, v58, v62
	v_fma_f32 v62, 0x3f3d2fb0, v43, -v65
	v_add_f32_e32 v61, v61, v64
	v_fmamk_f32 v64, v42, 0x3ee437d1, v68
	v_mul_f32_e32 v65, 0xbe3c28d5, v51
	v_fma_f32 v67, 0xbf59a7d5, v4, -v67
	v_add_f32_e32 v60, v60, v69
	v_mul_f32_e32 v69, 0x3f65296c, v55
	v_add_f32_e32 v58, v58, v62
	v_fma_f32 v62, 0xbf7ba420, v46, -v66
	v_add_f32_e32 v61, v61, v64
	v_fmamk_f32 v64, v45, 0xbf7ba420, v65
	v_mul_f32_e32 v66, 0x3f7ee86f, v53
	v_add_f32_e32 v63, v63, v67
	v_fma_f32 v67, 0x3f3d2fb0, v41, -v70
	v_fmamk_f32 v71, v52, 0x3ee437d1, v69
	v_add_f32_e32 v58, v58, v62
	v_add_f32_e32 v61, v61, v64
	v_fmamk_f32 v62, v43, 0x3dbcf732, v66
	v_mul_f32_e32 v64, 0xbeb8f4ab, v54
	v_add_f32_e32 v63, v63, v67
	v_fma_f32 v67, 0x3ee437d1, v42, -v68
	v_add_f32_e32 v60, v60, v71
	v_fma_f32 v69, 0x3ee437d1, v52, -v69
	v_add_f32_e32 v61, v61, v62
	v_fmamk_f32 v62, v46, 0x3f6eb680, v64
	v_mul_f32_e32 v71, 0xbf7ee86f, v47
	v_add_f32_e32 v63, v63, v67
	v_fma_f32 v65, 0xbf7ba420, v45, -v65
	v_add_f32_e32 v58, v58, v69
	v_add_f32_e32 v61, v61, v62
	v_fmamk_f32 v62, v44, 0x3dbcf732, v71
	v_mul_f32_e32 v69, 0xbe3c28d5, v48
	v_add_f32_e32 v63, v63, v65
	v_fma_f32 v65, 0x3dbcf732, v43, -v66
	v_mul_f32_e32 v68, 0xbf4c4adb, v55
	v_add_f32_e32 v62, v7, v62
	v_fmamk_f32 v70, v4, 0xbf7ba420, v69
	v_mul_f32_e32 v72, 0x3f763a35, v49
	v_add_f32_e32 v63, v63, v65
	v_fma_f32 v64, 0x3f6eb680, v46, -v64
	v_fma_f32 v65, 0x3dbcf732, v44, -v71
	v_fmamk_f32 v67, v52, 0xbf1a4643, v68
	v_add_f32_e32 v62, v62, v70
	v_fmamk_f32 v70, v41, 0xbe8c1d8e, v72
	v_mul_f32_e32 v73, 0x3eb8f4ab, v50
	v_add_f32_e32 v63, v63, v64
	v_add_f32_e32 v64, v7, v65
	v_fma_f32 v65, 0xbf7ba420, v4, -v69
	v_add_f32_e32 v61, v61, v67
	v_add_f32_e32 v62, v62, v70
	v_fmamk_f32 v66, v42, 0x3f6eb680, v73
	v_mul_f32_e32 v67, 0xbf65296c, v51
	v_add_f32_e32 v64, v64, v65
	v_fma_f32 v65, 0xbe8c1d8e, v41, -v72
	v_mul_f32_e32 v70, 0xbf06c442, v53
	v_add_f32_e32 v62, v62, v66
	v_fmamk_f32 v66, v45, 0x3ee437d1, v67
	v_mul_f32_e32 v69, 0x3f4c4adb, v54
	v_add_f32_e32 v64, v64, v65
	v_fma_f32 v65, 0x3f6eb680, v42, -v73
	v_fma_f32 v68, 0xbf1a4643, v52, -v68
	v_add_f32_e32 v62, v62, v66
	v_fmamk_f32 v66, v43, 0xbf59a7d5, v70
	v_mul_f32_e32 v71, 0xbf65296c, v47
	v_add_f32_e32 v64, v64, v65
	v_fma_f32 v65, 0x3ee437d1, v45, -v67
	v_add_f32_e32 v63, v63, v68
	v_add_f32_e32 v62, v62, v66
	v_fmamk_f32 v66, v46, 0xbf1a4643, v69
	v_mul_f32_e32 v68, 0xbf4c4adb, v48
	v_add_f32_e32 v64, v64, v65
	v_fma_f32 v65, 0xbf59a7d5, v43, -v70
	v_mul_f32_e32 v73, 0x3e3c28d5, v49
	v_add_f32_e32 v62, v62, v66
	v_fmamk_f32 v66, v44, 0x3ee437d1, v71
	v_fmamk_f32 v67, v4, 0xbf1a4643, v68
	v_add_f32_e32 v64, v64, v65
	v_fma_f32 v65, 0x3ee437d1, v44, -v71
	v_fma_f32 v68, 0xbf1a4643, v4, -v68
	v_add_f32_e32 v66, v7, v66
	v_mul_f32_e32 v72, 0x3f2c7751, v55
	v_mul_f32_e32 v70, 0x3f763a35, v50
	v_add_f32_e32 v65, v7, v65
	v_fma_f32 v69, 0xbf1a4643, v46, -v69
	v_add_f32_e32 v66, v66, v67
	v_fmamk_f32 v67, v41, 0xbf7ba420, v73
	v_fmamk_f32 v74, v52, 0x3f3d2fb0, v72
	v_add_f32_e32 v65, v65, v68
	v_fma_f32 v68, 0xbf7ba420, v41, -v73
	v_mul_f32_e32 v71, 0x3f2c7751, v51
	v_add_f32_e32 v66, v66, v67
	v_fmamk_f32 v67, v42, 0xbe8c1d8e, v70
	v_add_f32_e32 v64, v64, v69
	v_fma_f32 v72, 0x3f3d2fb0, v52, -v72
	v_add_f32_e32 v65, v65, v68
	v_fma_f32 v68, 0xbe8c1d8e, v42, -v70
	v_mul_f32_e32 v70, 0xbf2c7751, v47
	v_add_f32_e32 v62, v62, v74
	v_add_f32_e32 v66, v66, v67
	v_fmamk_f32 v67, v45, 0x3f3d2fb0, v71
	v_mul_f32_e32 v74, 0xbeb8f4ab, v53
	v_add_f32_e32 v64, v64, v72
	v_add_f32_e32 v65, v65, v68
	v_fma_f32 v68, 0x3f3d2fb0, v45, -v71
	v_fmamk_f32 v71, v44, 0x3f3d2fb0, v70
	v_mul_f32_e32 v72, 0xbf7ee86f, v48
	v_add_f32_e32 v66, v66, v67
	v_fmamk_f32 v67, v43, 0x3f6eb680, v74
	v_mul_f32_e32 v69, 0xbf7ee86f, v54
	v_add_f32_e32 v65, v65, v68
	v_fma_f32 v68, 0x3f6eb680, v43, -v74
	v_add_f32_e32 v71, v7, v71
	v_fmamk_f32 v74, v4, 0x3dbcf732, v72
	v_mul_f32_e32 v75, 0xbf4c4adb, v49
	v_add_f32_e32 v66, v66, v67
	v_fmamk_f32 v67, v46, 0x3dbcf732, v69
	v_add_f32_e32 v65, v65, v68
	v_fma_f32 v68, 0x3dbcf732, v46, -v69
	v_fma_f32 v69, 0x3f3d2fb0, v44, -v70
	v_add_f32_e32 v70, v71, v74
	v_fmamk_f32 v71, v41, 0xbf1a4643, v75
	v_mul_f32_e32 v74, 0xbe3c28d5, v50
	v_add_f32_e32 v65, v65, v68
	v_add_f32_e32 v68, v7, v69
	v_fma_f32 v69, 0x3dbcf732, v4, -v72
	v_add_f32_e32 v70, v70, v71
	v_fmamk_f32 v71, v42, 0xbf7ba420, v74
	v_add_f32_e32 v66, v66, v67
	v_mul_f32_e32 v67, 0xbf06c442, v55
	v_add_f32_e32 v68, v68, v69
	v_fma_f32 v69, 0xbf1a4643, v41, -v75
	v_add_f32_e32 v70, v70, v71
	v_add_f32_e32 v71, v7, v13
	v_fmamk_f32 v73, v52, 0xbf59a7d5, v67
	v_fma_f32 v67, 0xbf59a7d5, v52, -v67
	v_add_f32_e32 v68, v68, v69
	v_fma_f32 v69, 0xbf7ba420, v42, -v74
	v_add_f32_e32 v71, v71, v11
	v_mul_f32_e32 v72, 0x3f06c442, v51
	v_add_f32_e32 v65, v65, v67
	v_mul_f32_e32 v76, 0x3f763a35, v53
	v_add_f32_e32 v68, v68, v69
	v_add_f32_e32 v69, v71, v9
	v_fmamk_f32 v75, v45, 0xbf59a7d5, v72
	v_fma_f32 v71, 0xbf59a7d5, v45, -v72
	v_fmamk_f32 v74, v43, 0xbe8c1d8e, v76
	v_mul_f32_e32 v47, 0xbeb8f4ab, v47
	v_add_f32_e32 v67, v69, v21
	v_add_f32_e32 v70, v70, v75
	v_mul_f32_e32 v75, 0x3f65296c, v54
	v_add_f32_e32 v68, v68, v71
	v_fma_f32 v69, 0xbe8c1d8e, v43, -v76
	v_add_f32_e32 v67, v67, v19
	v_add_f32_e32 v70, v70, v74
	v_fma_f32 v74, 0x3f6eb680, v44, -v47
	v_fmamk_f32 v44, v44, 0x3f6eb680, v47
	v_add_f32_e32 v68, v68, v69
	v_add_f32_e32 v67, v67, v17
	v_fma_f32 v69, 0x3ee437d1, v46, -v75
	v_mul_f32_e32 v48, 0xbf2c7751, v48
	v_mul_f32_e32 v49, 0xbf65296c, v49
	;; [unrolled: 1-line block ×3, first 2 shown]
	v_add_f32_e32 v47, v67, v15
	v_add_f32_e32 v67, v7, v74
	;; [unrolled: 1-line block ×4, first 2 shown]
	v_fma_f32 v69, 0x3f3d2fb0, v4, -v48
	v_add_f32_e32 v44, v47, v25
	v_fmamk_f32 v4, v4, 0x3f3d2fb0, v48
	v_fma_f32 v48, 0x3ee437d1, v41, -v49
	v_mul_f32_e32 v71, 0x3eb8f4ab, v55
	v_add_f32_e32 v47, v67, v69
	v_add_f32_e32 v44, v44, v35
	;; [unrolled: 1-line block ×3, first 2 shown]
	v_fmamk_f32 v7, v41, 0x3ee437d1, v49
	v_fmamk_f32 v72, v46, 0x3ee437d1, v75
	v_add_f32_e32 v41, v47, v48
	v_add_f32_e32 v44, v31, v44
	v_fma_f32 v47, 0x3dbcf732, v42, -v50
	v_mul_f32_e32 v48, 0xbf763a35, v51
	v_add_f32_e32 v4, v4, v7
	v_fmamk_f32 v7, v42, 0x3dbcf732, v50
	v_add_f32_e32 v42, v27, v44
	v_add_f32_e32 v41, v41, v47
	v_fma_f32 v44, 0xbe8c1d8e, v45, -v48
	v_mul_f32_e32 v47, 0xbf4c4adb, v53
	v_add_f32_e32 v4, v4, v7
	;; [unrolled: 6-line block ×3, first 2 shown]
	v_add_f32_e32 v7, v37, v42
	v_fmamk_f32 v42, v43, 0xbf1a4643, v47
	v_add_f32_e32 v41, v41, v44
	v_fma_f32 v43, 0xbf59a7d5, v46, -v45
	v_mul_f32_e32 v44, 0xbe3c28d5, v55
	v_add_f32_e32 v7, v33, v7
	v_add_f32_e32 v4, v4, v42
	v_fmamk_f32 v42, v46, 0xbf59a7d5, v45
	v_add_f32_e32 v41, v41, v43
	v_fma_f32 v43, 0xbf7ba420, v52, -v44
	v_add_f32_e32 v7, v29, v7
	v_fma_f32 v45, 0x3f6eb680, v52, -v71
	v_add_f32_e32 v70, v70, v72
	v_fmamk_f32 v72, v52, 0x3f6eb680, v71
	v_add_f32_e32 v4, v4, v42
	v_fmamk_f32 v42, v52, 0xbf7ba420, v44
	v_add_f32_e32 v41, v41, v43
	v_add_f32_e32 v7, v23, v7
	v_mad_u32_u24 v43, 0x44, v3, 0
	v_add_f32_e32 v44, v68, v45
	v_add_f32_e32 v45, v66, v73
	;; [unrolled: 1-line block ×4, first 2 shown]
	ds_write2_b32 v43, v7, v41 offset1:1
	ds_write2_b32 v43, v44, v65 offset0:2 offset1:3
	ds_write2_b32 v43, v64, v63 offset0:4 offset1:5
	;; [unrolled: 1-line block ×7, first 2 shown]
	ds_write_b32 v43, v4 offset:64
.LBB0_13:
	s_or_b32 exec_lo, exec_lo, s1
	v_sub_f32_e32 v60, v13, v23
	v_add_f32_e32 v58, v14, v24
	v_sub_f32_e32 v57, v11, v29
	v_add_f32_e32 v55, v12, v30
	v_sub_f32_e32 v54, v9, v33
	v_mul_f32_e32 v59, 0xbe3c28d5, v60
	v_add_f32_e32 v52, v10, v34
	v_mul_f32_e32 v56, 0x3eb8f4ab, v57
	v_sub_f32_e32 v50, v21, v37
	v_mul_f32_e32 v53, 0xbf06c442, v54
	v_fma_f32 v4, 0xbf7ba420, v58, -v59
	v_add_f32_e32 v49, v22, v38
	v_fma_f32 v7, 0x3f6eb680, v55, -v56
	v_sub_f32_e32 v39, v19, v39
	v_mul_f32_e32 v51, 0x3f2c7751, v50
	v_add_f32_e32 v4, v8, v4
	v_fma_f32 v9, 0xbf59a7d5, v52, -v53
	v_add_f32_e32 v33, v20, v40
	v_sub_f32_e32 v21, v15, v31
	v_mul_f32_e32 v31, 0xbf4c4adb, v39
	v_add_f32_e32 v4, v4, v7
	v_fma_f32 v11, 0x3f3d2fb0, v49, -v51
	v_sub_f32_e32 v7, v25, v35
	v_lshl_add_u32 v35, v3, 2, 0
	v_sub_f32_e32 v27, v17, v27
	v_add_f32_e32 v4, v4, v9
	v_fma_f32 v9, 0xbf1a4643, v33, -v31
	v_add_f32_e32 v29, v18, v28
	v_add_nc_u32_e32 v13, 0x400, v35
	v_mul_f32_e32 v25, 0x3f65296c, v27
	v_add_f32_e32 v4, v4, v11
	s_waitcnt lgkmcnt(0)
	s_barrier
	buffer_gl0_inv
	v_add_f32_e32 v19, v16, v32
	v_add_f32_e32 v17, v4, v9
	v_add_nc_u32_e32 v4, 0x200, v35
	v_add_nc_u32_e32 v9, 0x800, v35
	v_mul_f32_e32 v23, 0xbf763a35, v21
	ds_read2_b32 v[41:42], v35 offset1:102
	ds_read2_b32 v[47:48], v4 offset0:76 offset1:178
	ds_read2_b32 v[45:46], v13 offset0:152 offset1:254
	;; [unrolled: 1-line block ×3, first 2 shown]
	ds_read_b32 v11, v35 offset:3264
	v_fma_f32 v15, 0x3ee437d1, v29, -v25
	s_waitcnt lgkmcnt(0)
	v_fma_f32 v61, 0xbe8c1d8e, v19, -v23
	s_barrier
	buffer_gl0_inv
	v_add_f32_e32 v37, v17, v15
	v_add_f32_e32 v17, v26, v36
	v_mul_f32_e32 v15, 0x3f7ee86f, v7
	v_add_f32_e32 v37, v37, v61
	v_fma_f32 v61, 0x3dbcf732, v17, -v15
	v_add_f32_e32 v37, v37, v61
	s_and_saveexec_b32 s1, s0
	s_cbranch_execz .LBB0_15
; %bb.14:
	v_add_f32_e32 v14, v8, v14
	v_mul_f32_e32 v68, 0xbf2c7751, v60
	v_mul_f32_e32 v61, 0xbf7ba420, v58
	;; [unrolled: 1-line block ×4, first 2 shown]
	v_add_f32_e32 v14, v14, v12
	v_mul_f32_e32 v71, 0xbf4c4adb, v60
	v_mul_f32_e32 v72, 0xbf2c7751, v57
	;; [unrolled: 1-line block ×4, first 2 shown]
	v_add_f32_e32 v10, v14, v10
	v_mul_f32_e32 v14, 0xbeb8f4ab, v60
	v_fmamk_f32 v76, v58, 0x3ee437d1, v69
	v_mul_f32_e32 v62, 0x3f6eb680, v55
	v_mul_f32_e32 v63, 0xbf59a7d5, v52
	v_add_f32_e32 v10, v10, v22
	v_mul_f32_e32 v22, 0xbf763a35, v60
	v_mul_f32_e32 v60, 0xbf06c442, v60
	v_fmamk_f32 v75, v58, 0x3f6eb680, v14
	v_fma_f32 v14, 0x3f6eb680, v58, -v14
	v_add_f32_e32 v10, v10, v20
	v_mul_f32_e32 v20, 0xbf7ee86f, v57
	v_fmamk_f32 v77, v58, 0xbe8c1d8e, v22
	v_fma_f32 v22, 0xbe8c1d8e, v58, -v22
	v_fmamk_f32 v78, v58, 0xbf59a7d5, v60
	v_add_f32_e32 v10, v10, v18
	v_fmamk_f32 v18, v58, 0x3f3d2fb0, v68
	v_fma_f32 v68, 0x3f3d2fb0, v58, -v68
	v_add_f32_e32 v14, v8, v14
	v_add_f32_e32 v22, v8, v22
	;; [unrolled: 1-line block ×3, first 2 shown]
	v_fma_f32 v16, 0x3ee437d1, v58, -v69
	v_fmamk_f32 v69, v58, 0x3dbcf732, v70
	v_fma_f32 v70, 0x3dbcf732, v58, -v70
	v_add_f32_e32 v18, v8, v18
	v_add_f32_e32 v10, v10, v26
	v_fmamk_f32 v26, v58, 0xbf1a4643, v71
	v_fma_f32 v71, 0xbf1a4643, v58, -v71
	v_add_f32_e32 v16, v8, v16
	v_add_f32_e32 v69, v8, v69
	v_add_f32_e32 v10, v10, v36
	v_fma_f32 v36, 0xbf59a7d5, v58, -v60
	v_add_f32_e32 v58, v61, v59
	v_fmamk_f32 v59, v55, 0x3f3d2fb0, v72
	v_fma_f32 v60, 0x3f3d2fb0, v55, -v72
	v_add_f32_e32 v10, v32, v10
	v_fmamk_f32 v32, v55, 0x3dbcf732, v20
	v_fma_f32 v20, 0x3dbcf732, v55, -v20
	v_fmamk_f32 v61, v55, 0xbf1a4643, v73
	v_fma_f32 v72, 0xbf1a4643, v55, -v73
	v_add_f32_e32 v10, v28, v10
	v_add_f32_e32 v73, v8, v75
	;; [unrolled: 1-line block ×8, first 2 shown]
	v_mul_f32_e32 v32, 0x3f06c442, v57
	v_fmamk_f32 v28, v55, 0xbf7ba420, v74
	v_add_f32_e32 v10, v38, v10
	v_add_f32_e32 v38, v8, v70
	;; [unrolled: 1-line block ×4, first 2 shown]
	v_fma_f32 v40, 0xbf7ba420, v55, -v74
	v_add_f32_e32 v10, v34, v10
	v_add_f32_e32 v34, v8, v71
	;; [unrolled: 1-line block ×4, first 2 shown]
	v_mul_f32_e32 v58, 0x3f763a35, v57
	v_add_f32_e32 v10, v30, v10
	v_add_f32_e32 v30, v73, v59
	v_fmamk_f32 v59, v55, 0xbf59a7d5, v32
	v_fma_f32 v32, 0xbf59a7d5, v55, -v32
	v_add_f32_e32 v38, v38, v40
	v_mul_f32_e32 v40, 0x3f65296c, v57
	v_fmamk_f32 v57, v55, 0xbe8c1d8e, v58
	v_add_f32_e32 v14, v14, v60
	v_add_f32_e32 v22, v22, v32
	v_fma_f32 v32, 0xbe8c1d8e, v55, -v58
	v_fmamk_f32 v58, v55, 0x3ee437d1, v40
	v_add_f32_e32 v26, v26, v57
	v_mul_f32_e32 v57, 0xbf65296c, v54
	v_fma_f32 v40, 0x3ee437d1, v55, -v40
	v_add_f32_e32 v55, v62, v56
	v_add_f32_e32 v16, v16, v72
	v_add_f32_e32 v28, v69, v28
	v_fmamk_f32 v56, v52, 0x3ee437d1, v57
	v_add_f32_e32 v36, v36, v40
	v_mul_f32_e32 v40, 0xbf4c4adb, v54
	v_fma_f32 v57, 0x3ee437d1, v52, -v57
	v_add_f32_e32 v8, v8, v55
	v_add_f32_e32 v30, v30, v56
	v_mul_f32_e32 v55, 0x3e3c28d5, v54
	v_fmamk_f32 v56, v52, 0xbf1a4643, v40
	v_add_f32_e32 v14, v14, v57
	v_fma_f32 v40, 0xbf1a4643, v52, -v40
	v_mul_f32_e32 v57, 0x3f763a35, v54
	v_add_f32_e32 v32, v34, v32
	v_add_f32_e32 v34, v71, v58
	v_fmamk_f32 v58, v52, 0xbf7ba420, v55
	v_fma_f32 v55, 0xbf7ba420, v52, -v55
	v_add_f32_e32 v20, v20, v40
	v_fmamk_f32 v40, v52, 0xbe8c1d8e, v57
	v_add_f32_e32 v18, v18, v56
	v_mul_f32_e32 v56, 0x3f2c7751, v54
	v_add_f32_e32 v16, v16, v55
	v_fma_f32 v55, 0xbe8c1d8e, v52, -v57
	v_add_f32_e32 v28, v28, v40
	v_mul_f32_e32 v40, 0xbeb8f4ab, v54
	v_fmamk_f32 v57, v52, 0x3f3d2fb0, v56
	v_fma_f32 v56, 0x3f3d2fb0, v52, -v56
	v_add_f32_e32 v38, v38, v55
	v_mul_f32_e32 v54, 0xbf7ee86f, v54
	v_fmamk_f32 v55, v52, 0x3f6eb680, v40
	;; [unrolled: 4-line block ×3, first 2 shown]
	v_add_f32_e32 v26, v26, v55
	v_mul_f32_e32 v55, 0xbf7ee86f, v50
	v_fma_f32 v52, 0x3dbcf732, v52, -v54
	v_add_f32_e32 v32, v32, v40
	v_add_f32_e32 v40, v63, v53
	v_mul_f32_e32 v65, 0xbf1a4643, v33
	v_fmamk_f32 v53, v49, 0x3dbcf732, v55
	v_add_f32_e32 v36, v36, v52
	v_mul_f32_e32 v52, 0xbe3c28d5, v50
	v_fma_f32 v54, 0x3dbcf732, v49, -v55
	v_add_f32_e32 v8, v8, v40
	v_add_f32_e32 v30, v30, v53
	v_mul_f32_e32 v40, 0x3f763a35, v50
	v_fmamk_f32 v53, v49, 0xbf7ba420, v52
	v_add_f32_e32 v14, v14, v54
	v_fma_f32 v52, 0xbf7ba420, v49, -v52
	v_mul_f32_e32 v54, 0x3eb8f4ab, v50
	v_fmamk_f32 v55, v49, 0xbe8c1d8e, v40
	v_fma_f32 v40, 0xbe8c1d8e, v49, -v40
	v_add_f32_e32 v18, v18, v53
	v_add_f32_e32 v20, v20, v52
	v_fmamk_f32 v52, v49, 0x3f6eb680, v54
	v_mul_f32_e32 v53, 0xbf65296c, v50
	v_add_f32_e32 v16, v16, v40
	v_fma_f32 v40, 0x3f6eb680, v49, -v54
	v_add_f32_e32 v31, v65, v31
	v_add_f32_e32 v28, v28, v52
	v_mul_f32_e32 v52, 0xbf06c442, v50
	v_fmamk_f32 v54, v49, 0x3ee437d1, v53
	v_fma_f32 v53, 0x3ee437d1, v49, -v53
	v_add_f32_e32 v38, v38, v40
	v_mul_f32_e32 v40, 0x3f4c4adb, v50
	v_fmamk_f32 v50, v49, 0xbf59a7d5, v52
	v_fma_f32 v52, 0xbf59a7d5, v49, -v52
	v_add_f32_e32 v22, v22, v53
	v_add_f32_e32 v34, v34, v56
	v_fmamk_f32 v53, v49, 0xbf1a4643, v40
	v_add_f32_e32 v26, v26, v50
	v_mul_f32_e32 v50, 0xbf763a35, v39
	v_fma_f32 v40, 0xbf1a4643, v49, -v40
	v_add_f32_e32 v49, v64, v51
	v_add_f32_e32 v32, v32, v52
	;; [unrolled: 1-line block ×3, first 2 shown]
	v_fmamk_f32 v51, v33, 0xbe8c1d8e, v50
	v_add_f32_e32 v36, v36, v40
	v_mul_f32_e32 v40, 0x3f06c442, v39
	v_fma_f32 v50, 0xbe8c1d8e, v33, -v50
	v_add_f32_e32 v8, v8, v49
	v_add_f32_e32 v30, v30, v51
	v_mul_f32_e32 v49, 0x3f2c7751, v39
	v_fmamk_f32 v51, v33, 0xbf59a7d5, v40
	v_add_f32_e32 v14, v14, v50
	v_fma_f32 v40, 0xbf59a7d5, v33, -v40
	v_mul_f32_e32 v50, 0xbf65296c, v39
	v_fmamk_f32 v52, v33, 0x3f3d2fb0, v49
	v_fma_f32 v49, 0x3f3d2fb0, v33, -v49
	v_add_f32_e32 v18, v18, v51
	v_add_f32_e32 v20, v20, v40
	v_fmamk_f32 v40, v33, 0x3ee437d1, v50
	v_mul_f32_e32 v51, 0xbe3c28d5, v39
	v_add_f32_e32 v16, v16, v49
	v_fma_f32 v49, 0x3ee437d1, v33, -v50
	v_add_f32_e32 v8, v8, v31
	v_add_f32_e32 v28, v28, v40
	v_mul_f32_e32 v40, 0x3f7ee86f, v39
	v_fmamk_f32 v50, v33, 0xbf7ba420, v51
	v_fma_f32 v51, 0xbf7ba420, v33, -v51
	v_add_f32_e32 v38, v38, v49
	v_mul_f32_e32 v39, 0xbeb8f4ab, v39
	v_fmamk_f32 v49, v33, 0x3dbcf732, v40
	v_fma_f32 v40, 0x3dbcf732, v33, -v40
	v_add_f32_e32 v22, v22, v51
	v_mul_f32_e32 v31, 0xbeb8f4ab, v27
	v_fmamk_f32 v51, v33, 0x3f6eb680, v39
	v_add_f32_e32 v26, v26, v49
	v_mul_f32_e32 v49, 0xbf4c4adb, v27
	v_fma_f32 v33, 0x3f6eb680, v33, -v39
	v_add_f32_e32 v32, v32, v40
	v_mul_f32_e32 v66, 0x3ee437d1, v29
	v_add_f32_e32 v34, v34, v51
	v_fmamk_f32 v39, v29, 0xbf1a4643, v49
	v_add_f32_e32 v33, v36, v33
	v_mul_f32_e32 v36, 0x3f763a35, v27
	v_fma_f32 v40, 0xbf1a4643, v29, -v49
	v_fmamk_f32 v49, v29, 0x3f6eb680, v31
	v_add_f32_e32 v30, v30, v39
	v_fma_f32 v31, 0x3f6eb680, v29, -v31
	v_fmamk_f32 v39, v29, 0xbe8c1d8e, v36
	v_add_f32_e32 v14, v14, v40
	v_fma_f32 v36, 0xbe8c1d8e, v29, -v36
	v_mul_f32_e32 v40, 0xbf06c442, v27
	v_add_f32_e32 v16, v16, v31
	v_add_f32_e32 v18, v18, v39
	v_mul_f32_e32 v39, 0x3f7ee86f, v27
	v_add_f32_e32 v20, v20, v36
	v_fmamk_f32 v36, v29, 0xbf59a7d5, v40
	v_fma_f32 v31, 0xbf59a7d5, v29, -v40
	v_add_f32_e32 v25, v66, v25
	v_fmamk_f32 v40, v29, 0x3dbcf732, v39
	v_fma_f32 v39, 0x3dbcf732, v29, -v39
	v_add_f32_e32 v28, v28, v36
	v_mul_f32_e32 v36, 0xbf2c7751, v27
	v_add_f32_e32 v31, v38, v31
	v_mul_f32_e32 v27, 0xbe3c28d5, v27
	v_add_f32_e32 v22, v22, v39
	v_add_f32_e32 v10, v24, v10
	v_fmamk_f32 v38, v29, 0x3f3d2fb0, v36
	v_fma_f32 v36, 0x3f3d2fb0, v29, -v36
	v_fmamk_f32 v39, v29, 0xbf7ba420, v27
	v_fma_f32 v27, 0xbf7ba420, v29, -v27
	v_add_f32_e32 v24, v68, v61
	v_add_f32_e32 v26, v26, v38
	v_mul_f32_e32 v38, 0xbf06c442, v21
	v_add_f32_e32 v29, v32, v36
	v_add_f32_e32 v32, v34, v39
	;; [unrolled: 1-line block ×3, first 2 shown]
	v_mul_f32_e32 v33, 0x3f65296c, v21
	v_fmamk_f32 v34, v19, 0xbf59a7d5, v38
	v_fma_f32 v36, 0xbf59a7d5, v19, -v38
	v_add_f32_e32 v8, v8, v25
	v_add_f32_e32 v24, v24, v58
	v_mul_f32_e32 v67, 0xbe8c1d8e, v19
	v_add_f32_e32 v25, v30, v34
	v_mul_f32_e32 v30, 0xbf7ee86f, v21
	v_fmamk_f32 v34, v19, 0x3ee437d1, v33
	v_add_f32_e32 v14, v14, v36
	v_fma_f32 v33, 0x3ee437d1, v19, -v33
	v_mul_f32_e32 v36, 0x3f4c4adb, v21
	v_fmamk_f32 v38, v19, 0x3dbcf732, v30
	v_add_f32_e32 v18, v18, v34
	v_fma_f32 v30, 0x3dbcf732, v19, -v30
	v_add_f32_e32 v20, v20, v33
	v_fmamk_f32 v33, v19, 0xbf1a4643, v36
	v_mul_f32_e32 v34, 0xbeb8f4ab, v21
	v_add_f32_e32 v24, v24, v55
	v_add_f32_e32 v16, v16, v30
	v_fma_f32 v30, 0xbf1a4643, v19, -v36
	v_add_f32_e32 v28, v28, v33
	v_mul_f32_e32 v33, 0xbe3c28d5, v21
	v_fmamk_f32 v36, v19, 0x3f6eb680, v34
	v_fma_f32 v34, 0x3f6eb680, v19, -v34
	v_mul_f32_e32 v21, 0x3f2c7751, v21
	v_add_f32_e32 v59, v70, v59
	v_add_f32_e32 v24, v24, v52
	;; [unrolled: 1-line block ×3, first 2 shown]
	v_fmamk_f32 v31, v19, 0xbf7ba420, v33
	v_add_f32_e32 v22, v22, v34
	v_fma_f32 v33, 0xbf7ba420, v19, -v33
	v_fmamk_f32 v34, v19, 0x3f3d2fb0, v21
	v_fma_f32 v19, 0x3f3d2fb0, v19, -v21
	v_mul_f32_e32 v21, 0xbe3c28d5, v7
	v_add_f32_e32 v23, v67, v23
	v_add_f32_e32 v57, v59, v57
	;; [unrolled: 1-line block ×6, first 2 shown]
	v_fmamk_f32 v27, v17, 0xbf7ba420, v21
	v_mul_f32_e32 v32, 0x3eb8f4ab, v7
	v_fma_f32 v21, 0xbf7ba420, v17, -v21
	v_add_f32_e32 v8, v8, v23
	v_mul_f32_e32 v23, 0xbf06c442, v7
	v_add_f32_e32 v54, v57, v54
	v_add_f32_e32 v24, v24, v38
	;; [unrolled: 1-line block ×4, first 2 shown]
	v_fmamk_f32 v27, v17, 0x3f6eb680, v32
	v_add_f32_e32 v14, v14, v21
	v_fma_f32 v21, 0x3f6eb680, v17, -v32
	v_fmamk_f32 v32, v17, 0xbf59a7d5, v23
	v_mul_f32_e32 v33, 0x3f2c7751, v7
	v_add_f32_e32 v50, v54, v50
	v_add_f32_e32 v18, v18, v27
	v_fma_f32 v23, 0xbf59a7d5, v17, -v23
	v_add_f32_e32 v20, v20, v21
	v_add_f32_e32 v21, v24, v32
	v_fmamk_f32 v24, v17, 0x3f3d2fb0, v33
	v_mul_f32_e32 v27, 0xbf4c4adb, v7
	v_add_f32_e32 v40, v50, v40
	v_add_f32_e32 v16, v16, v23
	v_mul_f32_e32 v23, 0x3f65296c, v7
	v_add_f32_e32 v24, v28, v24
	v_fmamk_f32 v28, v17, 0xbf1a4643, v27
	v_fma_f32 v27, 0xbf1a4643, v17, -v27
	v_mul_f32_e32 v7, 0xbf763a35, v7
	v_mul_f32_e32 v12, 0x3dbcf732, v17
	v_add_f32_e32 v36, v40, v36
	v_fma_f32 v32, 0x3f3d2fb0, v17, -v33
	v_fmamk_f32 v33, v17, 0x3ee437d1, v23
	v_add_f32_e32 v22, v22, v27
	v_fma_f32 v23, 0x3ee437d1, v17, -v23
	v_fmamk_f32 v27, v17, 0xbe8c1d8e, v7
	v_add_f32_e32 v12, v12, v15
	v_fma_f32 v7, 0xbe8c1d8e, v17, -v7
	v_lshl_add_u32 v15, v3, 6, v35
	v_add_f32_e32 v28, v36, v28
	v_add_f32_e32 v26, v26, v33
	;; [unrolled: 1-line block ×7, first 2 shown]
	ds_write2_b32 v15, v10, v25 offset1:1
	ds_write2_b32 v15, v18, v21 offset0:2 offset1:3
	ds_write2_b32 v15, v24, v28 offset0:4 offset1:5
	;; [unrolled: 1-line block ×7, first 2 shown]
	ds_write_b32 v15, v14 offset:64
.LBB0_15:
	s_or_b32 exec_lo, exec_lo, s1
	v_and_b32_e32 v7, 0xff, v3
	v_mov_b32_e32 v8, 6
	s_load_dwordx2 s[4:5], s[4:5], 0x0
	s_waitcnt lgkmcnt(0)
	s_barrier
	v_mul_lo_u16 v7, 0xf1, v7
	buffer_gl0_inv
	v_mov_b32_e32 v17, 0x264
	v_mov_b32_e32 v23, 2
	v_add_nc_u32_e32 v18, 0x600, v35
	v_lshrrev_b16 v10, 12, v7
	v_cmp_gt_u32_e64 s0, 51, v3
	v_mul_lo_u16 v7, v10, 17
	v_mul_u32_u24_sdwa v10, v10, v17 dst_sel:DWORD dst_unused:UNUSED_PAD src0_sel:WORD_0 src1_sel:DWORD
	v_sub_nc_u16 v16, v3, v7
	v_lshlrev_b32_sdwa v7, v8, v16 dst_sel:DWORD dst_unused:UNUSED_PAD src0_sel:DWORD src1_sel:BYTE_0
	v_lshlrev_b32_sdwa v36, v23, v16 dst_sel:DWORD dst_unused:UNUSED_PAD src0_sel:DWORD src1_sel:BYTE_0
	s_clause 0x3
	global_load_dwordx4 v[19:22], v7, s[12:13]
	global_load_dwordx4 v[49:52], v7, s[12:13] offset:16
	global_load_dwordx4 v[53:56], v7, s[12:13] offset:32
	;; [unrolled: 1-line block ×3, first 2 shown]
	ds_read2_b32 v[7:8], v35 offset1:102
	ds_read2_b32 v[14:15], v4 offset0:76 offset1:178
	ds_read2_b32 v[12:13], v13 offset0:152 offset1:254
	;; [unrolled: 1-line block ×3, first 2 shown]
	ds_read_b32 v34, v35 offset:3264
	s_waitcnt vmcnt(0) lgkmcnt(0)
	s_barrier
	buffer_gl0_inv
	v_mul_f32_e32 v23, v8, v20
	v_mul_f32_e32 v24, v42, v20
	v_mul_f32_e32 v20, v14, v22
	v_mul_f32_e32 v25, v47, v22
	v_mul_f32_e32 v22, v15, v50
	v_mul_f32_e32 v26, v48, v50
	v_mul_f32_e32 v32, v12, v52
	v_mul_f32_e32 v17, v45, v52
	v_mul_f32_e32 v33, v13, v54
	v_mul_f32_e32 v50, v39, v58
	v_mul_f32_e32 v52, v34, v60
	v_mul_f32_e32 v40, v38, v56
	v_fma_f32 v29, v42, v19, -v23
	v_fma_f32 v30, v47, v21, -v20
	v_fmac_f32_e32 v25, v14, v21
	v_fma_f32 v20, v48, v49, -v22
	v_fma_f32 v21, v45, v51, -v32
	;; [unrolled: 1-line block ×5, first 2 shown]
	v_mul_f32_e32 v31, v11, v60
	v_fmac_f32_e32 v24, v8, v19
	v_fma_f32 v23, v43, v55, -v40
	v_add_f32_e32 v8, v29, v33
	v_add_f32_e32 v11, v30, v32
	v_fmac_f32_e32 v26, v15, v49
	v_fmac_f32_e32 v17, v12, v51
	v_add_f32_e32 v12, v20, v23
	v_mul_f32_e32 v16, v46, v54
	v_add_f32_e32 v15, v11, v8
	v_mul_f32_e32 v27, v43, v56
	v_mul_f32_e32 v28, v44, v58
	v_fmac_f32_e32 v31, v34, v59
	v_fmac_f32_e32 v16, v13, v53
	v_add_f32_e32 v40, v12, v15
	v_fmac_f32_e32 v27, v38, v55
	v_add_f32_e32 v38, v21, v22
	v_fmac_f32_e32 v28, v39, v57
	v_sub_f32_e32 v34, v17, v16
	v_add_f32_e32 v40, v21, v40
	v_sub_f32_e32 v13, v24, v31
	v_fmamk_f32 v44, v38, 0x3f441b7d, v41
	v_sub_f32_e32 v14, v25, v28
	v_mul_f32_e32 v43, 0xbf248dbb, v34
	v_add_f32_e32 v40, v22, v40
	v_mul_f32_e32 v39, 0x3f248dbb, v13
	v_fmamk_f32 v42, v8, 0x3f441b7d, v41
	v_add_f32_e32 v46, v41, v12
	v_mul_f32_e32 v47, 0x3f7c1c5c, v34
	v_add_f32_e32 v40, v41, v40
	v_fmac_f32_e32 v41, 0x3f441b7d, v11
	v_sub_f32_e32 v19, v26, v27
	v_fmac_f32_e32 v43, 0x3f7c1c5c, v13
	v_fmac_f32_e32 v44, 0x3e31d0d4, v8
	v_fmac_f32_e32 v39, 0x3f7c1c5c, v14
	v_fmac_f32_e32 v42, 0x3e31d0d4, v11
	v_fma_f32 v47, 0xbf248dbb, v14, -v47
	v_fmac_f32_e32 v41, 0x3e31d0d4, v38
	v_add_f32_e32 v45, v34, v13
	v_add_f32_e32 v15, v38, v15
	v_fmac_f32_e32 v43, 0xbf5db3d7, v19
	v_fmac_f32_e32 v44, -0.5, v12
	v_fmac_f32_e32 v39, 0x3f5db3d7, v19
	v_fmac_f32_e32 v42, -0.5, v12
	;; [unrolled: 2-line block ×3, first 2 shown]
	v_sub_f32_e32 v45, v45, v14
	v_fmac_f32_e32 v46, -0.5, v15
	v_fmac_f32_e32 v43, 0x3eaf1d44, v14
	v_fmac_f32_e32 v44, 0xbf708fb2, v11
	;; [unrolled: 1-line block ×6, first 2 shown]
	v_mul_f32_e32 v8, 0x3f5db3d7, v45
	v_fmac_f32_e32 v46, 0x3f5db3d7, v45
	v_add_f32_e32 v11, v43, v44
	v_add_f32_e32 v12, v39, v42
	;; [unrolled: 1-line block ×3, first 2 shown]
	v_add3_u32 v19, 0, v10, v36
	v_fma_f32 v8, -2.0, v8, v46
	v_fma_f32 v10, -2.0, v43, v11
	;; [unrolled: 1-line block ×4, first 2 shown]
	ds_write2_b32 v19, v40, v12 offset1:17
	ds_write2_b32 v19, v11, v46 offset0:34 offset1:51
	ds_write2_b32 v19, v8, v10 offset0:102 offset1:119
	ds_write_b32 v19, v39 offset:544
	ds_write2_b32 v19, v13, v14 offset0:68 offset1:85
	s_waitcnt lgkmcnt(0)
	s_barrier
	buffer_gl0_inv
	ds_read2_b32 v[12:13], v35 offset1:102
	ds_read2_b32 v[10:11], v18 offset0:75 offset1:177
	ds_read2_b32 v[14:15], v4 offset0:76 offset1:178
	;; [unrolled: 1-line block ×3, first 2 shown]
	s_and_saveexec_b32 s1, s0
	s_cbranch_execz .LBB0_17
; %bb.16:
	ds_read_b32 v39, v35 offset:1632
	ds_read_b32 v0, v35 offset:3468
.LBB0_17:
	s_or_b32 exec_lo, exec_lo, s1
	v_add_f32_e32 v4, v24, v31
	v_add_f32_e32 v24, v25, v28
	;; [unrolled: 1-line block ×3, first 2 shown]
	v_sub_f32_e32 v26, v29, v33
	v_sub_f32_e32 v21, v21, v22
	v_add_f32_e32 v22, v17, v16
	v_add_f32_e32 v28, v24, v4
	v_sub_f32_e32 v27, v30, v32
	v_sub_f32_e32 v20, v20, v23
	v_mul_f32_e32 v23, 0x3f248dbb, v26
	v_fmamk_f32 v30, v4, 0x3f441b7d, v7
	v_add_f32_e32 v29, v25, v28
	v_fmamk_f32 v32, v22, 0x3f441b7d, v7
	v_mul_f32_e32 v31, 0xbf248dbb, v21
	v_fmac_f32_e32 v23, 0x3f7c1c5c, v27
	v_fmac_f32_e32 v30, 0x3e31d0d4, v24
	v_add_f32_e32 v17, v17, v29
	v_add_f32_e32 v29, v7, v25
	v_fmac_f32_e32 v31, 0x3f7c1c5c, v26
	v_fmac_f32_e32 v23, 0x3f5db3d7, v20
	v_fmac_f32_e32 v30, -0.5, v25
	v_add_f32_e32 v16, v16, v17
	v_mul_f32_e32 v17, 0x3f7c1c5c, v21
	v_fmac_f32_e32 v32, 0x3e31d0d4, v4
	v_fmac_f32_e32 v31, 0xbf5db3d7, v20
	;; [unrolled: 1-line block ×3, first 2 shown]
	v_add_f32_e32 v16, v7, v16
	v_fmac_f32_e32 v7, 0x3f441b7d, v24
	v_fma_f32 v17, 0xbf248dbb, v27, -v17
	v_fmac_f32_e32 v30, 0xbf708fb2, v22
	v_add_f32_e32 v21, v21, v26
	v_fmac_f32_e32 v32, -0.5, v25
	v_fmac_f32_e32 v7, 0x3e31d0d4, v22
	v_fmac_f32_e32 v17, 0x3f5db3d7, v20
	v_add_f32_e32 v22, v22, v28
	v_fmac_f32_e32 v31, 0x3eaf1d44, v27
	v_sub_f32_e32 v20, v21, v27
	v_fmac_f32_e32 v7, -0.5, v25
	v_fmac_f32_e32 v17, 0x3eaf1d44, v26
	v_fmac_f32_e32 v29, -0.5, v22
	v_fmac_f32_e32 v32, 0xbf708fb2, v24
	s_waitcnt lgkmcnt(0)
	v_fmac_f32_e32 v7, 0xbf708fb2, v4
	v_mul_f32_e32 v4, 0x3f5db3d7, v20
	v_fmac_f32_e32 v29, 0xbf5db3d7, v20
	v_sub_f32_e32 v21, v32, v31
	v_sub_f32_e32 v20, v30, v23
	;; [unrolled: 1-line block ×3, first 2 shown]
	s_barrier
	v_fma_f32 v4, 2.0, v4, v29
	v_fma_f32 v22, 2.0, v31, v21
	;; [unrolled: 1-line block ×4, first 2 shown]
	buffer_gl0_inv
	ds_write2_b32 v19, v16, v20 offset1:17
	ds_write2_b32 v19, v21, v29 offset0:34 offset1:51
	ds_write2_b32 v19, v7, v17 offset0:68 offset1:85
	;; [unrolled: 1-line block ×3, first 2 shown]
	ds_write_b32 v19, v40 offset:544
	v_add_nc_u32_e32 v4, 0x200, v35
	v_add_nc_u32_e32 v7, 0x800, v35
	s_waitcnt lgkmcnt(0)
	s_barrier
	buffer_gl0_inv
	ds_read2_b32 v[16:17], v35 offset1:102
	ds_read2_b32 v[22:23], v18 offset0:75 offset1:177
	ds_read2_b32 v[18:19], v4 offset0:76 offset1:178
	;; [unrolled: 1-line block ×3, first 2 shown]
	s_and_saveexec_b32 s1, s0
	s_cbranch_execz .LBB0_19
; %bb.18:
	ds_read_b32 v40, v35 offset:1632
	ds_read_b32 v37, v35 offset:3468
.LBB0_19:
	s_or_b32 exec_lo, exec_lo, s1
	v_add_nc_u32_e32 v34, 0x132, v3
	v_mov_b32_e32 v7, 0x358b
	v_add_nc_u32_e32 v36, 0x66, v3
	v_subrev_nc_u32_e32 v25, 51, v3
	v_add_nc_u32_e32 v38, 0x198, v3
	v_mul_u32_u24_sdwa v4, v34, v7 dst_sel:DWORD dst_unused:UNUSED_PAD src0_sel:WORD_0 src1_sel:DWORD
	v_cndmask_b32_e64 v41, v25, v36, s0
	v_lshrrev_b32_e32 v24, 21, v4
	v_mov_b32_e32 v4, 0
	v_mul_lo_u16 v24, 0x99, v24
	v_mov_b32_e32 v42, v4
	v_sub_nc_u16 v28, v34, v24
	v_lshlrev_b64 v[24:25], 3, v[3:4]
	v_mul_u32_u24_sdwa v4, v38, v7 dst_sel:DWORD dst_unused:UNUSED_PAD src0_sel:WORD_0 src1_sel:DWORD
	v_lshlrev_b64 v[26:27], 3, v[41:42]
	v_lshlrev_b32_e32 v41, 2, v41
	v_and_b32_e32 v7, 0xffff, v28
	v_add_nc_u32_e32 v42, 0x400, v35
	v_add_co_u32 v24, s1, s12, v24
	v_lshrrev_b32_e32 v4, 21, v4
	v_add_co_ci_u32_e64 v25, s1, s13, v25, s1
	v_add_co_u32 v30, s1, s12, v26
	v_lshlrev_b32_e32 v32, 3, v7
	v_add_co_ci_u32_e64 v31, s1, s13, v27, s1
	v_mul_lo_u16 v4, 0x99, v4
	s_clause 0x3
	global_load_dwordx2 v[28:29], v[24:25], off offset:1088
	global_load_dwordx2 v[26:27], v32, s[12:13] offset:1088
	global_load_dwordx2 v[32:33], v[30:31], off offset:1088
	global_load_dwordx2 v[30:31], v[24:25], off offset:1496
	v_cmp_lt_u32_e64 s1, 50, v3
	v_lshl_add_u32 v44, v7, 2, 0
	v_sub_nc_u16 v4, v38, v4
	v_cndmask_b32_e64 v43, 0, 0x4c8, s1
	v_add_nc_u32_e32 v47, 0x800, v44
	v_and_b32_e32 v4, 0xffff, v4
	v_add3_u32 v43, 0, v43, v41
	v_lshlrev_b32_e32 v24, 3, v4
	v_lshl_add_u32 v41, v4, 2, 0
	global_load_dwordx2 v[24:25], v24, s[12:13] offset:1088
	s_waitcnt vmcnt(0) lgkmcnt(0)
	s_barrier
	buffer_gl0_inv
	v_mul_f32_e32 v4, v22, v29
	v_mul_f32_e32 v46, v21, v27
	;; [unrolled: 1-line block ×4, first 2 shown]
	v_fma_f32 v4, v10, v28, -v4
	v_fma_f32 v46, v9, v26, -v46
	;; [unrolled: 1-line block ×4, first 2 shown]
	v_sub_f32_e32 v4, v12, v4
	v_sub_f32_e32 v46, v15, v46
	;; [unrolled: 1-line block ×4, first 2 shown]
	v_fma_f32 v12, v12, 2.0, -v4
	v_fma_f32 v15, v15, 2.0, -v46
	;; [unrolled: 1-line block ×4, first 2 shown]
	ds_write2_b32 v35, v12, v4 offset1:153
	ds_write2_b32 v43, v13, v7 offset1:153
	ds_write2_b32 v42, v14, v45 offset0:101 offset1:254
	ds_write2_b32 v47, v15, v46 offset0:100 offset1:253
	s_and_saveexec_b32 s1, s0
	s_cbranch_execz .LBB0_21
; %bb.20:
	v_mul_f32_e32 v4, v37, v25
	v_add_nc_u32_e32 v12, 0x800, v41
	v_fma_f32 v4, v0, v24, -v4
	v_sub_f32_e32 v4, v39, v4
	v_fma_f32 v7, v39, 2.0, -v4
	ds_write2_b32 v12, v7, v4 offset0:100 offset1:253
.LBB0_21:
	s_or_b32 exec_lo, exec_lo, s1
	v_mul_f32_e32 v31, v8, v31
	v_add_nc_u32_e32 v4, 0x200, v35
	v_mul_f32_e32 v15, v10, v29
	v_mul_f32_e32 v29, v11, v33
	v_add_nc_u32_e32 v11, 0x800, v35
	v_fmac_f32_e32 v31, v20, v30
	v_mul_f32_e32 v20, v9, v27
	s_waitcnt lgkmcnt(0)
	s_barrier
	buffer_gl0_inv
	ds_read2_b32 v[7:8], v35 offset1:102
	ds_read2_b32 v[9:10], v4 offset0:76 offset1:178
	ds_read2_b32 v[11:12], v11 offset0:100 offset1:202
	;; [unrolled: 1-line block ×3, first 2 shown]
	ds_read_b32 v4, v35 offset:3264
	v_fmac_f32_e32 v15, v22, v28
	v_fmac_f32_e32 v29, v23, v32
	;; [unrolled: 1-line block ×3, first 2 shown]
	v_sub_f32_e32 v22, v18, v31
	v_add_nc_u32_e32 v23, 0x800, v44
	v_sub_f32_e32 v15, v16, v15
	v_sub_f32_e32 v21, v17, v29
	;; [unrolled: 1-line block ×3, first 2 shown]
	v_fma_f32 v18, v18, 2.0, -v22
	s_waitcnt lgkmcnt(0)
	v_fma_f32 v16, v16, 2.0, -v15
	v_fma_f32 v17, v17, 2.0, -v21
	;; [unrolled: 1-line block ×3, first 2 shown]
	s_barrier
	buffer_gl0_inv
	ds_write2_b32 v35, v16, v15 offset1:153
	ds_write2_b32 v43, v17, v21 offset1:153
	ds_write2_b32 v42, v18, v22 offset0:101 offset1:254
	ds_write2_b32 v23, v19, v20 offset0:100 offset1:253
	s_and_saveexec_b32 s1, s0
	s_cbranch_execz .LBB0_23
; %bb.22:
	v_mul_f32_e32 v0, v0, v25
	v_add_nc_u32_e32 v16, 0x800, v41
	v_fmac_f32_e32 v0, v37, v24
	v_sub_f32_e32 v0, v40, v0
	v_fma_f32 v15, v40, 2.0, -v0
	ds_write2_b32 v16, v15, v0 offset0:100 offset1:253
.LBB0_23:
	s_or_b32 exec_lo, exec_lo, s1
	s_waitcnt lgkmcnt(0)
	s_barrier
	buffer_gl0_inv
	s_and_saveexec_b32 s0, vcc_lo
	s_cbranch_execz .LBB0_25
; %bb.24:
	v_add_nc_u32_e32 v54, 0xcc, v3
	v_mov_b32_e32 v20, 0
	v_mad_u64_u32 v[29:30], null, s2, v3, 0
	v_mad_u64_u32 v[31:32], null, s2, v34, 0
	v_lshlrev_b32_e32 v19, 1, v54
	v_add_nc_u32_e32 v53, 0x264, v3
	v_add_nc_u32_e32 v56, 0x2ca, v3
	v_mul_lo_u32 v33, s5, v5
	v_mul_lo_u32 v37, s4, v6
	v_lshlrev_b64 v[15:16], 3, v[19:20]
	v_lshlrev_b32_e32 v19, 1, v36
	v_mad_u64_u32 v[5:6], null, s4, v5, 0
	v_mad_u64_u32 v[39:40], null, s2, v36, 0
	v_add_co_u32 v0, vcc_lo, s12, v15
	v_add_co_ci_u32_e32 v16, vcc_lo, s13, v16, vcc_lo
	v_lshlrev_b64 v[21:22], 3, v[19:20]
	v_add_co_u32 v15, vcc_lo, 0x800, v0
	v_lshlrev_b32_e32 v19, 1, v3
	v_add_co_ci_u32_e32 v16, vcc_lo, 0, v16, vcc_lo
	v_add_co_u32 v0, vcc_lo, s12, v21
	v_add_co_ci_u32_e32 v22, vcc_lo, s13, v22, vcc_lo
	v_lshlrev_b64 v[23:24], 3, v[19:20]
	v_add_co_u32 v21, vcc_lo, 0x800, v0
	v_add_co_ci_u32_e32 v22, vcc_lo, 0, v22, vcc_lo
	global_load_dwordx4 v[15:18], v[15:16], off offset:264
	v_add_co_u32 v0, vcc_lo, s12, v23
	global_load_dwordx4 v[19:22], v[21:22], off offset:264
	v_add_co_ci_u32_e32 v24, vcc_lo, s13, v24, vcc_lo
	v_add_co_u32 v23, vcc_lo, 0x800, v0
	v_mad_u64_u32 v[41:42], null, s2, v38, 0
	v_add_co_ci_u32_e32 v24, vcc_lo, 0, v24, vcc_lo
	v_lshlrev_b64 v[0:1], 3, v[1:2]
	v_mov_b32_e32 v2, v30
	v_mov_b32_e32 v30, v32
	global_load_dwordx4 v[23:26], v[23:24], off offset:264
	v_mad_u64_u32 v[49:50], null, s2, v53, 0
	v_mad_u64_u32 v[51:52], null, s2, v56, 0
	v_mul_hi_u32 v57, 0xd62b80d7, v54
	v_add_nc_u32_e32 v43, 0x400, v35
	ds_read_b32 v55, v35 offset:3264
	v_add_nc_u32_e32 v45, 0x200, v35
	v_add_nc_u32_e32 v47, 0x800, v35
	ds_read2_b32 v[27:28], v35 offset1:102
	v_add3_u32 v6, v6, v37, v33
	v_mov_b32_e32 v32, v40
	v_mov_b32_e32 v33, v42
	v_mad_u64_u32 v[34:35], null, s3, v34, v[30:31]
	v_mad_u64_u32 v[2:3], null, s3, v3, v[2:3]
	v_mov_b32_e32 v3, v50
	v_mov_b32_e32 v30, v52
	v_mad_u64_u32 v[35:36], null, s3, v36, v[32:33]
	v_lshrrev_b32_e32 v32, 8, v57
	v_mad_u64_u32 v[36:37], null, s3, v38, v[33:34]
	v_mad_u64_u32 v[37:38], null, s3, v53, v[3:4]
	v_mad_u64_u32 v[52:53], null, s3, v56, v[30:31]
	v_mad_u32_u24 v53, 0x264, v32, v54
	v_lshlrev_b64 v[5:6], 3, v[5:6]
	ds_read2_b32 v[43:44], v43 offset0:152 offset1:254
	ds_read2_b32 v[45:46], v45 offset0:76 offset1:178
	;; [unrolled: 1-line block ×3, first 2 shown]
	v_mov_b32_e32 v30, v2
	v_mov_b32_e32 v32, v34
	v_add_nc_u32_e32 v54, 0x132, v53
	v_mad_u64_u32 v[2:3], null, s2, v53, 0
	v_add_nc_u32_e32 v56, 0x264, v53
	v_add_co_u32 v5, vcc_lo, s10, v5
	v_add_co_ci_u32_e32 v6, vcc_lo, s11, v6, vcc_lo
	v_mov_b32_e32 v42, v36
	v_mad_u64_u32 v[33:34], null, s2, v54, 0
	v_mov_b32_e32 v40, v35
	v_mad_u64_u32 v[35:36], null, s2, v56, 0
	v_add_co_u32 v57, vcc_lo, v5, v0
	v_add_co_ci_u32_e32 v58, vcc_lo, v6, v1, vcc_lo
	v_lshlrev_b64 v[5:6], 3, v[31:32]
	v_lshlrev_b64 v[31:32], 3, v[41:42]
	v_mad_u64_u32 v[41:42], null, s3, v53, v[3:4]
	v_mov_b32_e32 v50, v37
	v_mov_b32_e32 v3, v34
	;; [unrolled: 1-line block ×3, first 2 shown]
	v_lshlrev_b64 v[0:1], 3, v[29:30]
	v_lshlrev_b64 v[29:30], 3, v[39:40]
	;; [unrolled: 1-line block ×3, first 2 shown]
	v_mad_u64_u32 v[49:50], null, s3, v54, v[3:4]
	v_mov_b32_e32 v3, v41
	v_lshlrev_b64 v[39:40], 3, v[51:52]
	v_mad_u64_u32 v[50:51], null, s3, v56, v[34:35]
	v_add_co_u32 v0, vcc_lo, v57, v0
	v_add_co_ci_u32_e32 v1, vcc_lo, v58, v1, vcc_lo
	v_mov_b32_e32 v34, v49
	v_add_co_u32 v5, vcc_lo, v57, v5
	v_mov_b32_e32 v36, v50
	v_add_co_ci_u32_e32 v6, vcc_lo, v58, v6, vcc_lo
	v_add_co_u32 v29, vcc_lo, v57, v29
	v_add_co_ci_u32_e32 v30, vcc_lo, v58, v30, vcc_lo
	v_add_co_u32 v31, vcc_lo, v57, v31
	;; [unrolled: 2-line block ×3, first 2 shown]
	v_lshlrev_b64 v[2:3], 3, v[2:3]
	v_add_co_ci_u32_e32 v38, vcc_lo, v58, v38, vcc_lo
	v_add_co_u32 v39, vcc_lo, v57, v39
	v_lshlrev_b64 v[33:34], 3, v[33:34]
	v_add_co_ci_u32_e32 v40, vcc_lo, v58, v40, vcc_lo
	v_lshlrev_b64 v[35:36], 3, v[35:36]
	v_add_co_u32 v2, vcc_lo, v57, v2
	v_add_co_ci_u32_e32 v3, vcc_lo, v58, v3, vcc_lo
	v_add_co_u32 v33, vcc_lo, v57, v33
	v_add_co_ci_u32_e32 v34, vcc_lo, v58, v34, vcc_lo
	;; [unrolled: 2-line block ×3, first 2 shown]
	s_waitcnt vmcnt(2) lgkmcnt(2)
	v_mul_f32_e32 v41, v44, v16
	v_mul_f32_e32 v42, v55, v18
	;; [unrolled: 1-line block ×4, first 2 shown]
	v_fma_f32 v14, v14, v15, -v41
	v_fma_f32 v4, v4, v17, -v42
	v_fmac_f32_e32 v16, v15, v44
	v_fmac_f32_e32 v18, v17, v55
	s_waitcnt vmcnt(1)
	v_mul_f32_e32 v15, v43, v20
	s_waitcnt lgkmcnt(0)
	v_mul_f32_e32 v17, v48, v22
	v_mul_f32_e32 v20, v13, v20
	;; [unrolled: 1-line block ×3, first 2 shown]
	v_add_f32_e32 v42, v16, v18
	v_sub_f32_e32 v49, v16, v18
	v_add_f32_e32 v16, v16, v45
	v_fma_f32 v50, v13, v19, -v15
	v_fma_f32 v51, v12, v21, -v17
	v_fmac_f32_e32 v20, v19, v43
	v_fmac_f32_e32 v22, v21, v48
	s_waitcnt vmcnt(0)
	v_mul_f32_e32 v17, v46, v24
	v_mul_f32_e32 v19, v47, v26
	v_mul_f32_e32 v21, v10, v24
	v_mul_f32_e32 v24, v11, v26
	v_add_f32_e32 v15, v18, v16
	v_add_f32_e32 v16, v20, v22
	;; [unrolled: 1-line block ×3, first 2 shown]
	v_sub_f32_e32 v26, v20, v22
	v_add_f32_e32 v20, v20, v28
	v_fma_f32 v43, v10, v23, -v17
	v_fma_f32 v11, v11, v25, -v19
	v_fmac_f32_e32 v21, v23, v46
	v_fmac_f32_e32 v24, v25, v47
	v_fma_f32 v13, -0.5, v42, v45
	v_add_f32_e32 v42, v8, v50
	v_fma_f32 v17, -0.5, v16, v28
	v_fma_f32 v16, -0.5, v18, v8
	v_add_f32_e32 v19, v22, v20
	v_add_f32_e32 v8, v21, v24
	;; [unrolled: 1-line block ×3, first 2 shown]
	v_sub_f32_e32 v41, v14, v4
	v_add_f32_e32 v44, v14, v4
	v_add_f32_e32 v14, v9, v14
	;; [unrolled: 1-line block ×4, first 2 shown]
	v_sub_f32_e32 v20, v43, v11
	v_sub_f32_e32 v28, v21, v24
	v_fma_f32 v8, -0.5, v8, v27
	v_fma_f32 v7, -0.5, v22, v7
	v_add_f32_e32 v14, v14, v4
	v_sub_f32_e32 v4, v50, v51
	v_fma_f32 v12, -0.5, v44, v9
	v_add_f32_e32 v23, v24, v23
	v_add_f32_e32 v22, v25, v11
	v_fmamk_f32 v25, v20, 0x3f5db3d7, v8
	v_fmamk_f32 v24, v28, 0xbf5db3d7, v7
	v_fmac_f32_e32 v8, 0xbf5db3d7, v20
	v_fmac_f32_e32 v7, 0x3f5db3d7, v28
	v_add_f32_e32 v18, v42, v51
	v_fmamk_f32 v21, v4, 0x3f5db3d7, v17
	v_fmamk_f32 v20, v26, 0xbf5db3d7, v16
	v_fmac_f32_e32 v17, 0xbf5db3d7, v4
	v_fmac_f32_e32 v16, 0x3f5db3d7, v26
	v_fmamk_f32 v10, v41, 0x3f5db3d7, v13
	v_fmamk_f32 v9, v49, 0xbf5db3d7, v12
	v_fmac_f32_e32 v13, 0xbf5db3d7, v41
	v_fmac_f32_e32 v12, 0x3f5db3d7, v49
	global_store_dwordx2 v[0:1], v[22:23], off
	global_store_dwordx2 v[5:6], v[7:8], off
	;; [unrolled: 1-line block ×9, first 2 shown]
.LBB0_25:
	s_endpgm
	.section	.rodata,"a",@progbits
	.p2align	6, 0x0
	.amdhsa_kernel fft_rtc_fwd_len918_factors_17_9_2_3_wgs_102_tpt_102_halfLds_sp_op_CI_CI_sbrr_dirReg
		.amdhsa_group_segment_fixed_size 0
		.amdhsa_private_segment_fixed_size 0
		.amdhsa_kernarg_size 104
		.amdhsa_user_sgpr_count 6
		.amdhsa_user_sgpr_private_segment_buffer 1
		.amdhsa_user_sgpr_dispatch_ptr 0
		.amdhsa_user_sgpr_queue_ptr 0
		.amdhsa_user_sgpr_kernarg_segment_ptr 1
		.amdhsa_user_sgpr_dispatch_id 0
		.amdhsa_user_sgpr_flat_scratch_init 0
		.amdhsa_user_sgpr_private_segment_size 0
		.amdhsa_wavefront_size32 1
		.amdhsa_uses_dynamic_stack 0
		.amdhsa_system_sgpr_private_segment_wavefront_offset 0
		.amdhsa_system_sgpr_workgroup_id_x 1
		.amdhsa_system_sgpr_workgroup_id_y 0
		.amdhsa_system_sgpr_workgroup_id_z 0
		.amdhsa_system_sgpr_workgroup_info 0
		.amdhsa_system_vgpr_workitem_id 0
		.amdhsa_next_free_vgpr 79
		.amdhsa_next_free_sgpr 31
		.amdhsa_reserve_vcc 1
		.amdhsa_reserve_flat_scratch 0
		.amdhsa_float_round_mode_32 0
		.amdhsa_float_round_mode_16_64 0
		.amdhsa_float_denorm_mode_32 3
		.amdhsa_float_denorm_mode_16_64 3
		.amdhsa_dx10_clamp 1
		.amdhsa_ieee_mode 1
		.amdhsa_fp16_overflow 0
		.amdhsa_workgroup_processor_mode 1
		.amdhsa_memory_ordered 1
		.amdhsa_forward_progress 0
		.amdhsa_shared_vgpr_count 0
		.amdhsa_exception_fp_ieee_invalid_op 0
		.amdhsa_exception_fp_denorm_src 0
		.amdhsa_exception_fp_ieee_div_zero 0
		.amdhsa_exception_fp_ieee_overflow 0
		.amdhsa_exception_fp_ieee_underflow 0
		.amdhsa_exception_fp_ieee_inexact 0
		.amdhsa_exception_int_div_zero 0
	.end_amdhsa_kernel
	.text
.Lfunc_end0:
	.size	fft_rtc_fwd_len918_factors_17_9_2_3_wgs_102_tpt_102_halfLds_sp_op_CI_CI_sbrr_dirReg, .Lfunc_end0-fft_rtc_fwd_len918_factors_17_9_2_3_wgs_102_tpt_102_halfLds_sp_op_CI_CI_sbrr_dirReg
                                        ; -- End function
	.section	.AMDGPU.csdata,"",@progbits
; Kernel info:
; codeLenInByte = 10832
; NumSgprs: 33
; NumVgprs: 79
; ScratchSize: 0
; MemoryBound: 0
; FloatMode: 240
; IeeeMode: 1
; LDSByteSize: 0 bytes/workgroup (compile time only)
; SGPRBlocks: 4
; VGPRBlocks: 9
; NumSGPRsForWavesPerEU: 33
; NumVGPRsForWavesPerEU: 79
; Occupancy: 12
; WaveLimiterHint : 1
; COMPUTE_PGM_RSRC2:SCRATCH_EN: 0
; COMPUTE_PGM_RSRC2:USER_SGPR: 6
; COMPUTE_PGM_RSRC2:TRAP_HANDLER: 0
; COMPUTE_PGM_RSRC2:TGID_X_EN: 1
; COMPUTE_PGM_RSRC2:TGID_Y_EN: 0
; COMPUTE_PGM_RSRC2:TGID_Z_EN: 0
; COMPUTE_PGM_RSRC2:TIDIG_COMP_CNT: 0
	.text
	.p2alignl 6, 3214868480
	.fill 48, 4, 3214868480
	.type	__hip_cuid_222419c7b7d78bb5,@object ; @__hip_cuid_222419c7b7d78bb5
	.section	.bss,"aw",@nobits
	.globl	__hip_cuid_222419c7b7d78bb5
__hip_cuid_222419c7b7d78bb5:
	.byte	0                               ; 0x0
	.size	__hip_cuid_222419c7b7d78bb5, 1

	.ident	"AMD clang version 19.0.0git (https://github.com/RadeonOpenCompute/llvm-project roc-6.4.0 25133 c7fe45cf4b819c5991fe208aaa96edf142730f1d)"
	.section	".note.GNU-stack","",@progbits
	.addrsig
	.addrsig_sym __hip_cuid_222419c7b7d78bb5
	.amdgpu_metadata
---
amdhsa.kernels:
  - .args:
      - .actual_access:  read_only
        .address_space:  global
        .offset:         0
        .size:           8
        .value_kind:     global_buffer
      - .offset:         8
        .size:           8
        .value_kind:     by_value
      - .actual_access:  read_only
        .address_space:  global
        .offset:         16
        .size:           8
        .value_kind:     global_buffer
      - .actual_access:  read_only
        .address_space:  global
        .offset:         24
        .size:           8
        .value_kind:     global_buffer
      - .actual_access:  read_only
        .address_space:  global
        .offset:         32
        .size:           8
        .value_kind:     global_buffer
      - .offset:         40
        .size:           8
        .value_kind:     by_value
      - .actual_access:  read_only
        .address_space:  global
        .offset:         48
        .size:           8
        .value_kind:     global_buffer
      - .actual_access:  read_only
        .address_space:  global
        .offset:         56
        .size:           8
        .value_kind:     global_buffer
      - .offset:         64
        .size:           4
        .value_kind:     by_value
      - .actual_access:  read_only
        .address_space:  global
        .offset:         72
        .size:           8
        .value_kind:     global_buffer
      - .actual_access:  read_only
        .address_space:  global
        .offset:         80
        .size:           8
        .value_kind:     global_buffer
      - .actual_access:  read_only
        .address_space:  global
        .offset:         88
        .size:           8
        .value_kind:     global_buffer
      - .actual_access:  write_only
        .address_space:  global
        .offset:         96
        .size:           8
        .value_kind:     global_buffer
    .group_segment_fixed_size: 0
    .kernarg_segment_align: 8
    .kernarg_segment_size: 104
    .language:       OpenCL C
    .language_version:
      - 2
      - 0
    .max_flat_workgroup_size: 102
    .name:           fft_rtc_fwd_len918_factors_17_9_2_3_wgs_102_tpt_102_halfLds_sp_op_CI_CI_sbrr_dirReg
    .private_segment_fixed_size: 0
    .sgpr_count:     33
    .sgpr_spill_count: 0
    .symbol:         fft_rtc_fwd_len918_factors_17_9_2_3_wgs_102_tpt_102_halfLds_sp_op_CI_CI_sbrr_dirReg.kd
    .uniform_work_group_size: 1
    .uses_dynamic_stack: false
    .vgpr_count:     79
    .vgpr_spill_count: 0
    .wavefront_size: 32
    .workgroup_processor_mode: 1
amdhsa.target:   amdgcn-amd-amdhsa--gfx1030
amdhsa.version:
  - 1
  - 2
...

	.end_amdgpu_metadata
